;; amdgpu-corpus repo=ROCm/hipCUB kind=compiled arch=gfx906 opt=O3
	.amdgcn_target "amdgcn-amd-amdhsa--gfx906"
	.amdhsa_code_object_version 6
	.section	.text._Z18vector_test_kernelI15HIP_vector_typeIhLj1EELj1ELj16EEvPT_S3_,"axG",@progbits,_Z18vector_test_kernelI15HIP_vector_typeIhLj1EELj1ELj16EEvPT_S3_,comdat
	.protected	_Z18vector_test_kernelI15HIP_vector_typeIhLj1EELj1ELj16EEvPT_S3_ ; -- Begin function _Z18vector_test_kernelI15HIP_vector_typeIhLj1EELj1ELj16EEvPT_S3_
	.globl	_Z18vector_test_kernelI15HIP_vector_typeIhLj1EELj1ELj16EEvPT_S3_
	.p2align	8
	.type	_Z18vector_test_kernelI15HIP_vector_typeIhLj1EELj1ELj16EEvPT_S3_,@function
_Z18vector_test_kernelI15HIP_vector_typeIhLj1EELj1ELj16EEvPT_S3_: ; @_Z18vector_test_kernelI15HIP_vector_typeIhLj1EELj1ELj16EEvPT_S3_
; %bb.0:
	s_load_dwordx2 s[0:1], s[4:5], 0x8
	v_lshl_add_u32 v0, s6, 4, v0
	v_mov_b32_e32 v1, 0
	s_waitcnt lgkmcnt(0)
	global_store_byte v0, v1, s[0:1]
	s_endpgm
	.section	.rodata,"a",@progbits
	.p2align	6, 0x0
	.amdhsa_kernel _Z18vector_test_kernelI15HIP_vector_typeIhLj1EELj1ELj16EEvPT_S3_
		.amdhsa_group_segment_fixed_size 0
		.amdhsa_private_segment_fixed_size 0
		.amdhsa_kernarg_size 16
		.amdhsa_user_sgpr_count 6
		.amdhsa_user_sgpr_private_segment_buffer 1
		.amdhsa_user_sgpr_dispatch_ptr 0
		.amdhsa_user_sgpr_queue_ptr 0
		.amdhsa_user_sgpr_kernarg_segment_ptr 1
		.amdhsa_user_sgpr_dispatch_id 0
		.amdhsa_user_sgpr_flat_scratch_init 0
		.amdhsa_user_sgpr_private_segment_size 0
		.amdhsa_uses_dynamic_stack 0
		.amdhsa_system_sgpr_private_segment_wavefront_offset 0
		.amdhsa_system_sgpr_workgroup_id_x 1
		.amdhsa_system_sgpr_workgroup_id_y 0
		.amdhsa_system_sgpr_workgroup_id_z 0
		.amdhsa_system_sgpr_workgroup_info 0
		.amdhsa_system_vgpr_workitem_id 0
		.amdhsa_next_free_vgpr 2
		.amdhsa_next_free_sgpr 7
		.amdhsa_reserve_vcc 0
		.amdhsa_reserve_flat_scratch 0
		.amdhsa_float_round_mode_32 0
		.amdhsa_float_round_mode_16_64 0
		.amdhsa_float_denorm_mode_32 3
		.amdhsa_float_denorm_mode_16_64 3
		.amdhsa_dx10_clamp 1
		.amdhsa_ieee_mode 1
		.amdhsa_fp16_overflow 0
		.amdhsa_exception_fp_ieee_invalid_op 0
		.amdhsa_exception_fp_denorm_src 0
		.amdhsa_exception_fp_ieee_div_zero 0
		.amdhsa_exception_fp_ieee_overflow 0
		.amdhsa_exception_fp_ieee_underflow 0
		.amdhsa_exception_fp_ieee_inexact 0
		.amdhsa_exception_int_div_zero 0
	.end_amdhsa_kernel
	.section	.text._Z18vector_test_kernelI15HIP_vector_typeIhLj1EELj1ELj16EEvPT_S3_,"axG",@progbits,_Z18vector_test_kernelI15HIP_vector_typeIhLj1EELj1ELj16EEvPT_S3_,comdat
.Lfunc_end0:
	.size	_Z18vector_test_kernelI15HIP_vector_typeIhLj1EELj1ELj16EEvPT_S3_, .Lfunc_end0-_Z18vector_test_kernelI15HIP_vector_typeIhLj1EELj1ELj16EEvPT_S3_
                                        ; -- End function
	.set _Z18vector_test_kernelI15HIP_vector_typeIhLj1EELj1ELj16EEvPT_S3_.num_vgpr, 2
	.set _Z18vector_test_kernelI15HIP_vector_typeIhLj1EELj1ELj16EEvPT_S3_.num_agpr, 0
	.set _Z18vector_test_kernelI15HIP_vector_typeIhLj1EELj1ELj16EEvPT_S3_.numbered_sgpr, 7
	.set _Z18vector_test_kernelI15HIP_vector_typeIhLj1EELj1ELj16EEvPT_S3_.num_named_barrier, 0
	.set _Z18vector_test_kernelI15HIP_vector_typeIhLj1EELj1ELj16EEvPT_S3_.private_seg_size, 0
	.set _Z18vector_test_kernelI15HIP_vector_typeIhLj1EELj1ELj16EEvPT_S3_.uses_vcc, 0
	.set _Z18vector_test_kernelI15HIP_vector_typeIhLj1EELj1ELj16EEvPT_S3_.uses_flat_scratch, 0
	.set _Z18vector_test_kernelI15HIP_vector_typeIhLj1EELj1ELj16EEvPT_S3_.has_dyn_sized_stack, 0
	.set _Z18vector_test_kernelI15HIP_vector_typeIhLj1EELj1ELj16EEvPT_S3_.has_recursion, 0
	.set _Z18vector_test_kernelI15HIP_vector_typeIhLj1EELj1ELj16EEvPT_S3_.has_indirect_call, 0
	.section	.AMDGPU.csdata,"",@progbits
; Kernel info:
; codeLenInByte = 36
; TotalNumSgprs: 11
; NumVgprs: 2
; ScratchSize: 0
; MemoryBound: 0
; FloatMode: 240
; IeeeMode: 1
; LDSByteSize: 0 bytes/workgroup (compile time only)
; SGPRBlocks: 1
; VGPRBlocks: 0
; NumSGPRsForWavesPerEU: 11
; NumVGPRsForWavesPerEU: 2
; Occupancy: 10
; WaveLimiterHint : 0
; COMPUTE_PGM_RSRC2:SCRATCH_EN: 0
; COMPUTE_PGM_RSRC2:USER_SGPR: 6
; COMPUTE_PGM_RSRC2:TRAP_HANDLER: 0
; COMPUTE_PGM_RSRC2:TGID_X_EN: 1
; COMPUTE_PGM_RSRC2:TGID_Y_EN: 0
; COMPUTE_PGM_RSRC2:TGID_Z_EN: 0
; COMPUTE_PGM_RSRC2:TIDIG_COMP_CNT: 0
	.section	.text._Z18vector_test_kernelI15HIP_vector_typeIdLj1EELj1ELj16EEvPT_S3_,"axG",@progbits,_Z18vector_test_kernelI15HIP_vector_typeIdLj1EELj1ELj16EEvPT_S3_,comdat
	.protected	_Z18vector_test_kernelI15HIP_vector_typeIdLj1EELj1ELj16EEvPT_S3_ ; -- Begin function _Z18vector_test_kernelI15HIP_vector_typeIdLj1EELj1ELj16EEvPT_S3_
	.globl	_Z18vector_test_kernelI15HIP_vector_typeIdLj1EELj1ELj16EEvPT_S3_
	.p2align	8
	.type	_Z18vector_test_kernelI15HIP_vector_typeIdLj1EELj1ELj16EEvPT_S3_,@function
_Z18vector_test_kernelI15HIP_vector_typeIdLj1EELj1ELj16EEvPT_S3_: ; @_Z18vector_test_kernelI15HIP_vector_typeIdLj1EELj1ELj16EEvPT_S3_
; %bb.0:
	s_load_dwordx4 s[0:3], s[4:5], 0x0
	v_lshl_add_u32 v0, s6, 4, v0
	v_mov_b32_e32 v1, 0
	v_lshlrev_b64 v[0:1], 3, v[0:1]
	s_waitcnt lgkmcnt(0)
	v_mov_b32_e32 v3, s1
	v_add_co_u32_e32 v2, vcc, s0, v0
	v_addc_co_u32_e32 v3, vcc, v3, v1, vcc
	global_load_dwordx2 v[2:3], v[2:3], off
	v_mov_b32_e32 v4, s3
	v_add_co_u32_e32 v0, vcc, s2, v0
	v_addc_co_u32_e32 v1, vcc, v4, v1, vcc
	s_waitcnt vmcnt(0)
	v_add_f64 v[2:3], v[2:3], -v[2:3]
	global_store_dwordx2 v[0:1], v[2:3], off
	s_endpgm
	.section	.rodata,"a",@progbits
	.p2align	6, 0x0
	.amdhsa_kernel _Z18vector_test_kernelI15HIP_vector_typeIdLj1EELj1ELj16EEvPT_S3_
		.amdhsa_group_segment_fixed_size 0
		.amdhsa_private_segment_fixed_size 0
		.amdhsa_kernarg_size 16
		.amdhsa_user_sgpr_count 6
		.amdhsa_user_sgpr_private_segment_buffer 1
		.amdhsa_user_sgpr_dispatch_ptr 0
		.amdhsa_user_sgpr_queue_ptr 0
		.amdhsa_user_sgpr_kernarg_segment_ptr 1
		.amdhsa_user_sgpr_dispatch_id 0
		.amdhsa_user_sgpr_flat_scratch_init 0
		.amdhsa_user_sgpr_private_segment_size 0
		.amdhsa_uses_dynamic_stack 0
		.amdhsa_system_sgpr_private_segment_wavefront_offset 0
		.amdhsa_system_sgpr_workgroup_id_x 1
		.amdhsa_system_sgpr_workgroup_id_y 0
		.amdhsa_system_sgpr_workgroup_id_z 0
		.amdhsa_system_sgpr_workgroup_info 0
		.amdhsa_system_vgpr_workitem_id 0
		.amdhsa_next_free_vgpr 5
		.amdhsa_next_free_sgpr 7
		.amdhsa_reserve_vcc 1
		.amdhsa_reserve_flat_scratch 0
		.amdhsa_float_round_mode_32 0
		.amdhsa_float_round_mode_16_64 0
		.amdhsa_float_denorm_mode_32 3
		.amdhsa_float_denorm_mode_16_64 3
		.amdhsa_dx10_clamp 1
		.amdhsa_ieee_mode 1
		.amdhsa_fp16_overflow 0
		.amdhsa_exception_fp_ieee_invalid_op 0
		.amdhsa_exception_fp_denorm_src 0
		.amdhsa_exception_fp_ieee_div_zero 0
		.amdhsa_exception_fp_ieee_overflow 0
		.amdhsa_exception_fp_ieee_underflow 0
		.amdhsa_exception_fp_ieee_inexact 0
		.amdhsa_exception_int_div_zero 0
	.end_amdhsa_kernel
	.section	.text._Z18vector_test_kernelI15HIP_vector_typeIdLj1EELj1ELj16EEvPT_S3_,"axG",@progbits,_Z18vector_test_kernelI15HIP_vector_typeIdLj1EELj1ELj16EEvPT_S3_,comdat
.Lfunc_end1:
	.size	_Z18vector_test_kernelI15HIP_vector_typeIdLj1EELj1ELj16EEvPT_S3_, .Lfunc_end1-_Z18vector_test_kernelI15HIP_vector_typeIdLj1EELj1ELj16EEvPT_S3_
                                        ; -- End function
	.set _Z18vector_test_kernelI15HIP_vector_typeIdLj1EELj1ELj16EEvPT_S3_.num_vgpr, 5
	.set _Z18vector_test_kernelI15HIP_vector_typeIdLj1EELj1ELj16EEvPT_S3_.num_agpr, 0
	.set _Z18vector_test_kernelI15HIP_vector_typeIdLj1EELj1ELj16EEvPT_S3_.numbered_sgpr, 7
	.set _Z18vector_test_kernelI15HIP_vector_typeIdLj1EELj1ELj16EEvPT_S3_.num_named_barrier, 0
	.set _Z18vector_test_kernelI15HIP_vector_typeIdLj1EELj1ELj16EEvPT_S3_.private_seg_size, 0
	.set _Z18vector_test_kernelI15HIP_vector_typeIdLj1EELj1ELj16EEvPT_S3_.uses_vcc, 1
	.set _Z18vector_test_kernelI15HIP_vector_typeIdLj1EELj1ELj16EEvPT_S3_.uses_flat_scratch, 0
	.set _Z18vector_test_kernelI15HIP_vector_typeIdLj1EELj1ELj16EEvPT_S3_.has_dyn_sized_stack, 0
	.set _Z18vector_test_kernelI15HIP_vector_typeIdLj1EELj1ELj16EEvPT_S3_.has_recursion, 0
	.set _Z18vector_test_kernelI15HIP_vector_typeIdLj1EELj1ELj16EEvPT_S3_.has_indirect_call, 0
	.section	.AMDGPU.csdata,"",@progbits
; Kernel info:
; codeLenInByte = 88
; TotalNumSgprs: 11
; NumVgprs: 5
; ScratchSize: 0
; MemoryBound: 0
; FloatMode: 240
; IeeeMode: 1
; LDSByteSize: 0 bytes/workgroup (compile time only)
; SGPRBlocks: 1
; VGPRBlocks: 1
; NumSGPRsForWavesPerEU: 11
; NumVGPRsForWavesPerEU: 5
; Occupancy: 10
; WaveLimiterHint : 0
; COMPUTE_PGM_RSRC2:SCRATCH_EN: 0
; COMPUTE_PGM_RSRC2:USER_SGPR: 6
; COMPUTE_PGM_RSRC2:TRAP_HANDLER: 0
; COMPUTE_PGM_RSRC2:TGID_X_EN: 1
; COMPUTE_PGM_RSRC2:TGID_Y_EN: 0
; COMPUTE_PGM_RSRC2:TGID_Z_EN: 0
; COMPUTE_PGM_RSRC2:TIDIG_COMP_CNT: 0
	.section	.text._Z18vector_test_kernelI15HIP_vector_typeIfLj1EELj1ELj16EEvPT_S3_,"axG",@progbits,_Z18vector_test_kernelI15HIP_vector_typeIfLj1EELj1ELj16EEvPT_S3_,comdat
	.protected	_Z18vector_test_kernelI15HIP_vector_typeIfLj1EELj1ELj16EEvPT_S3_ ; -- Begin function _Z18vector_test_kernelI15HIP_vector_typeIfLj1EELj1ELj16EEvPT_S3_
	.globl	_Z18vector_test_kernelI15HIP_vector_typeIfLj1EELj1ELj16EEvPT_S3_
	.p2align	8
	.type	_Z18vector_test_kernelI15HIP_vector_typeIfLj1EELj1ELj16EEvPT_S3_,@function
_Z18vector_test_kernelI15HIP_vector_typeIfLj1EELj1ELj16EEvPT_S3_: ; @_Z18vector_test_kernelI15HIP_vector_typeIfLj1EELj1ELj16EEvPT_S3_
; %bb.0:
	s_load_dwordx4 s[0:3], s[4:5], 0x0
	v_lshl_add_u32 v0, s6, 4, v0
	v_mov_b32_e32 v1, 0
	v_lshlrev_b64 v[0:1], 2, v[0:1]
	s_waitcnt lgkmcnt(0)
	v_mov_b32_e32 v3, s1
	v_add_co_u32_e32 v2, vcc, s0, v0
	v_addc_co_u32_e32 v3, vcc, v3, v1, vcc
	global_load_dword v2, v[2:3], off
	v_mov_b32_e32 v3, s3
	v_add_co_u32_e32 v0, vcc, s2, v0
	v_addc_co_u32_e32 v1, vcc, v3, v1, vcc
	s_waitcnt vmcnt(0)
	v_sub_f32_e32 v2, v2, v2
	global_store_dword v[0:1], v2, off
	s_endpgm
	.section	.rodata,"a",@progbits
	.p2align	6, 0x0
	.amdhsa_kernel _Z18vector_test_kernelI15HIP_vector_typeIfLj1EELj1ELj16EEvPT_S3_
		.amdhsa_group_segment_fixed_size 0
		.amdhsa_private_segment_fixed_size 0
		.amdhsa_kernarg_size 16
		.amdhsa_user_sgpr_count 6
		.amdhsa_user_sgpr_private_segment_buffer 1
		.amdhsa_user_sgpr_dispatch_ptr 0
		.amdhsa_user_sgpr_queue_ptr 0
		.amdhsa_user_sgpr_kernarg_segment_ptr 1
		.amdhsa_user_sgpr_dispatch_id 0
		.amdhsa_user_sgpr_flat_scratch_init 0
		.amdhsa_user_sgpr_private_segment_size 0
		.amdhsa_uses_dynamic_stack 0
		.amdhsa_system_sgpr_private_segment_wavefront_offset 0
		.amdhsa_system_sgpr_workgroup_id_x 1
		.amdhsa_system_sgpr_workgroup_id_y 0
		.amdhsa_system_sgpr_workgroup_id_z 0
		.amdhsa_system_sgpr_workgroup_info 0
		.amdhsa_system_vgpr_workitem_id 0
		.amdhsa_next_free_vgpr 4
		.amdhsa_next_free_sgpr 7
		.amdhsa_reserve_vcc 1
		.amdhsa_reserve_flat_scratch 0
		.amdhsa_float_round_mode_32 0
		.amdhsa_float_round_mode_16_64 0
		.amdhsa_float_denorm_mode_32 3
		.amdhsa_float_denorm_mode_16_64 3
		.amdhsa_dx10_clamp 1
		.amdhsa_ieee_mode 1
		.amdhsa_fp16_overflow 0
		.amdhsa_exception_fp_ieee_invalid_op 0
		.amdhsa_exception_fp_denorm_src 0
		.amdhsa_exception_fp_ieee_div_zero 0
		.amdhsa_exception_fp_ieee_overflow 0
		.amdhsa_exception_fp_ieee_underflow 0
		.amdhsa_exception_fp_ieee_inexact 0
		.amdhsa_exception_int_div_zero 0
	.end_amdhsa_kernel
	.section	.text._Z18vector_test_kernelI15HIP_vector_typeIfLj1EELj1ELj16EEvPT_S3_,"axG",@progbits,_Z18vector_test_kernelI15HIP_vector_typeIfLj1EELj1ELj16EEvPT_S3_,comdat
.Lfunc_end2:
	.size	_Z18vector_test_kernelI15HIP_vector_typeIfLj1EELj1ELj16EEvPT_S3_, .Lfunc_end2-_Z18vector_test_kernelI15HIP_vector_typeIfLj1EELj1ELj16EEvPT_S3_
                                        ; -- End function
	.set _Z18vector_test_kernelI15HIP_vector_typeIfLj1EELj1ELj16EEvPT_S3_.num_vgpr, 4
	.set _Z18vector_test_kernelI15HIP_vector_typeIfLj1EELj1ELj16EEvPT_S3_.num_agpr, 0
	.set _Z18vector_test_kernelI15HIP_vector_typeIfLj1EELj1ELj16EEvPT_S3_.numbered_sgpr, 7
	.set _Z18vector_test_kernelI15HIP_vector_typeIfLj1EELj1ELj16EEvPT_S3_.num_named_barrier, 0
	.set _Z18vector_test_kernelI15HIP_vector_typeIfLj1EELj1ELj16EEvPT_S3_.private_seg_size, 0
	.set _Z18vector_test_kernelI15HIP_vector_typeIfLj1EELj1ELj16EEvPT_S3_.uses_vcc, 1
	.set _Z18vector_test_kernelI15HIP_vector_typeIfLj1EELj1ELj16EEvPT_S3_.uses_flat_scratch, 0
	.set _Z18vector_test_kernelI15HIP_vector_typeIfLj1EELj1ELj16EEvPT_S3_.has_dyn_sized_stack, 0
	.set _Z18vector_test_kernelI15HIP_vector_typeIfLj1EELj1ELj16EEvPT_S3_.has_recursion, 0
	.set _Z18vector_test_kernelI15HIP_vector_typeIfLj1EELj1ELj16EEvPT_S3_.has_indirect_call, 0
	.section	.AMDGPU.csdata,"",@progbits
; Kernel info:
; codeLenInByte = 84
; TotalNumSgprs: 11
; NumVgprs: 4
; ScratchSize: 0
; MemoryBound: 0
; FloatMode: 240
; IeeeMode: 1
; LDSByteSize: 0 bytes/workgroup (compile time only)
; SGPRBlocks: 1
; VGPRBlocks: 0
; NumSGPRsForWavesPerEU: 11
; NumVGPRsForWavesPerEU: 4
; Occupancy: 10
; WaveLimiterHint : 0
; COMPUTE_PGM_RSRC2:SCRATCH_EN: 0
; COMPUTE_PGM_RSRC2:USER_SGPR: 6
; COMPUTE_PGM_RSRC2:TRAP_HANDLER: 0
; COMPUTE_PGM_RSRC2:TGID_X_EN: 1
; COMPUTE_PGM_RSRC2:TGID_Y_EN: 0
; COMPUTE_PGM_RSRC2:TGID_Z_EN: 0
; COMPUTE_PGM_RSRC2:TIDIG_COMP_CNT: 0
	.section	.text._Z18vector_test_kernelI15HIP_vector_typeIyLj1EELj1ELj16EEvPT_S3_,"axG",@progbits,_Z18vector_test_kernelI15HIP_vector_typeIyLj1EELj1ELj16EEvPT_S3_,comdat
	.protected	_Z18vector_test_kernelI15HIP_vector_typeIyLj1EELj1ELj16EEvPT_S3_ ; -- Begin function _Z18vector_test_kernelI15HIP_vector_typeIyLj1EELj1ELj16EEvPT_S3_
	.globl	_Z18vector_test_kernelI15HIP_vector_typeIyLj1EELj1ELj16EEvPT_S3_
	.p2align	8
	.type	_Z18vector_test_kernelI15HIP_vector_typeIyLj1EELj1ELj16EEvPT_S3_,@function
_Z18vector_test_kernelI15HIP_vector_typeIyLj1EELj1ELj16EEvPT_S3_: ; @_Z18vector_test_kernelI15HIP_vector_typeIyLj1EELj1ELj16EEvPT_S3_
; %bb.0:
	s_load_dwordx2 s[0:1], s[4:5], 0x8
	v_lshl_add_u32 v0, s6, 4, v0
	v_mov_b32_e32 v1, 0
	v_lshlrev_b64 v[2:3], 3, v[0:1]
	s_waitcnt lgkmcnt(0)
	v_mov_b32_e32 v0, s1
	v_add_co_u32_e32 v2, vcc, s0, v2
	v_addc_co_u32_e32 v3, vcc, v0, v3, vcc
	v_mov_b32_e32 v0, v1
	global_store_dwordx2 v[2:3], v[0:1], off
	s_endpgm
	.section	.rodata,"a",@progbits
	.p2align	6, 0x0
	.amdhsa_kernel _Z18vector_test_kernelI15HIP_vector_typeIyLj1EELj1ELj16EEvPT_S3_
		.amdhsa_group_segment_fixed_size 0
		.amdhsa_private_segment_fixed_size 0
		.amdhsa_kernarg_size 16
		.amdhsa_user_sgpr_count 6
		.amdhsa_user_sgpr_private_segment_buffer 1
		.amdhsa_user_sgpr_dispatch_ptr 0
		.amdhsa_user_sgpr_queue_ptr 0
		.amdhsa_user_sgpr_kernarg_segment_ptr 1
		.amdhsa_user_sgpr_dispatch_id 0
		.amdhsa_user_sgpr_flat_scratch_init 0
		.amdhsa_user_sgpr_private_segment_size 0
		.amdhsa_uses_dynamic_stack 0
		.amdhsa_system_sgpr_private_segment_wavefront_offset 0
		.amdhsa_system_sgpr_workgroup_id_x 1
		.amdhsa_system_sgpr_workgroup_id_y 0
		.amdhsa_system_sgpr_workgroup_id_z 0
		.amdhsa_system_sgpr_workgroup_info 0
		.amdhsa_system_vgpr_workitem_id 0
		.amdhsa_next_free_vgpr 4
		.amdhsa_next_free_sgpr 7
		.amdhsa_reserve_vcc 1
		.amdhsa_reserve_flat_scratch 0
		.amdhsa_float_round_mode_32 0
		.amdhsa_float_round_mode_16_64 0
		.amdhsa_float_denorm_mode_32 3
		.amdhsa_float_denorm_mode_16_64 3
		.amdhsa_dx10_clamp 1
		.amdhsa_ieee_mode 1
		.amdhsa_fp16_overflow 0
		.amdhsa_exception_fp_ieee_invalid_op 0
		.amdhsa_exception_fp_denorm_src 0
		.amdhsa_exception_fp_ieee_div_zero 0
		.amdhsa_exception_fp_ieee_overflow 0
		.amdhsa_exception_fp_ieee_underflow 0
		.amdhsa_exception_fp_ieee_inexact 0
		.amdhsa_exception_int_div_zero 0
	.end_amdhsa_kernel
	.section	.text._Z18vector_test_kernelI15HIP_vector_typeIyLj1EELj1ELj16EEvPT_S3_,"axG",@progbits,_Z18vector_test_kernelI15HIP_vector_typeIyLj1EELj1ELj16EEvPT_S3_,comdat
.Lfunc_end3:
	.size	_Z18vector_test_kernelI15HIP_vector_typeIyLj1EELj1ELj16EEvPT_S3_, .Lfunc_end3-_Z18vector_test_kernelI15HIP_vector_typeIyLj1EELj1ELj16EEvPT_S3_
                                        ; -- End function
	.set _Z18vector_test_kernelI15HIP_vector_typeIyLj1EELj1ELj16EEvPT_S3_.num_vgpr, 4
	.set _Z18vector_test_kernelI15HIP_vector_typeIyLj1EELj1ELj16EEvPT_S3_.num_agpr, 0
	.set _Z18vector_test_kernelI15HIP_vector_typeIyLj1EELj1ELj16EEvPT_S3_.numbered_sgpr, 7
	.set _Z18vector_test_kernelI15HIP_vector_typeIyLj1EELj1ELj16EEvPT_S3_.num_named_barrier, 0
	.set _Z18vector_test_kernelI15HIP_vector_typeIyLj1EELj1ELj16EEvPT_S3_.private_seg_size, 0
	.set _Z18vector_test_kernelI15HIP_vector_typeIyLj1EELj1ELj16EEvPT_S3_.uses_vcc, 1
	.set _Z18vector_test_kernelI15HIP_vector_typeIyLj1EELj1ELj16EEvPT_S3_.uses_flat_scratch, 0
	.set _Z18vector_test_kernelI15HIP_vector_typeIyLj1EELj1ELj16EEvPT_S3_.has_dyn_sized_stack, 0
	.set _Z18vector_test_kernelI15HIP_vector_typeIyLj1EELj1ELj16EEvPT_S3_.has_recursion, 0
	.set _Z18vector_test_kernelI15HIP_vector_typeIyLj1EELj1ELj16EEvPT_S3_.has_indirect_call, 0
	.section	.AMDGPU.csdata,"",@progbits
; Kernel info:
; codeLenInByte = 60
; TotalNumSgprs: 11
; NumVgprs: 4
; ScratchSize: 0
; MemoryBound: 0
; FloatMode: 240
; IeeeMode: 1
; LDSByteSize: 0 bytes/workgroup (compile time only)
; SGPRBlocks: 1
; VGPRBlocks: 0
; NumSGPRsForWavesPerEU: 11
; NumVGPRsForWavesPerEU: 4
; Occupancy: 10
; WaveLimiterHint : 0
; COMPUTE_PGM_RSRC2:SCRATCH_EN: 0
; COMPUTE_PGM_RSRC2:USER_SGPR: 6
; COMPUTE_PGM_RSRC2:TRAP_HANDLER: 0
; COMPUTE_PGM_RSRC2:TGID_X_EN: 1
; COMPUTE_PGM_RSRC2:TGID_Y_EN: 0
; COMPUTE_PGM_RSRC2:TGID_Z_EN: 0
; COMPUTE_PGM_RSRC2:TIDIG_COMP_CNT: 0
	.section	.text._Z18vector_test_kernelI15HIP_vector_typeIxLj1EELj1ELj16EEvPT_S3_,"axG",@progbits,_Z18vector_test_kernelI15HIP_vector_typeIxLj1EELj1ELj16EEvPT_S3_,comdat
	.protected	_Z18vector_test_kernelI15HIP_vector_typeIxLj1EELj1ELj16EEvPT_S3_ ; -- Begin function _Z18vector_test_kernelI15HIP_vector_typeIxLj1EELj1ELj16EEvPT_S3_
	.globl	_Z18vector_test_kernelI15HIP_vector_typeIxLj1EELj1ELj16EEvPT_S3_
	.p2align	8
	.type	_Z18vector_test_kernelI15HIP_vector_typeIxLj1EELj1ELj16EEvPT_S3_,@function
_Z18vector_test_kernelI15HIP_vector_typeIxLj1EELj1ELj16EEvPT_S3_: ; @_Z18vector_test_kernelI15HIP_vector_typeIxLj1EELj1ELj16EEvPT_S3_
; %bb.0:
	s_load_dwordx2 s[0:1], s[4:5], 0x8
	v_lshl_add_u32 v0, s6, 4, v0
	v_mov_b32_e32 v1, 0
	v_lshlrev_b64 v[2:3], 3, v[0:1]
	s_waitcnt lgkmcnt(0)
	v_mov_b32_e32 v0, s1
	v_add_co_u32_e32 v2, vcc, s0, v2
	v_addc_co_u32_e32 v3, vcc, v0, v3, vcc
	v_mov_b32_e32 v0, v1
	global_store_dwordx2 v[2:3], v[0:1], off
	s_endpgm
	.section	.rodata,"a",@progbits
	.p2align	6, 0x0
	.amdhsa_kernel _Z18vector_test_kernelI15HIP_vector_typeIxLj1EELj1ELj16EEvPT_S3_
		.amdhsa_group_segment_fixed_size 0
		.amdhsa_private_segment_fixed_size 0
		.amdhsa_kernarg_size 16
		.amdhsa_user_sgpr_count 6
		.amdhsa_user_sgpr_private_segment_buffer 1
		.amdhsa_user_sgpr_dispatch_ptr 0
		.amdhsa_user_sgpr_queue_ptr 0
		.amdhsa_user_sgpr_kernarg_segment_ptr 1
		.amdhsa_user_sgpr_dispatch_id 0
		.amdhsa_user_sgpr_flat_scratch_init 0
		.amdhsa_user_sgpr_private_segment_size 0
		.amdhsa_uses_dynamic_stack 0
		.amdhsa_system_sgpr_private_segment_wavefront_offset 0
		.amdhsa_system_sgpr_workgroup_id_x 1
		.amdhsa_system_sgpr_workgroup_id_y 0
		.amdhsa_system_sgpr_workgroup_id_z 0
		.amdhsa_system_sgpr_workgroup_info 0
		.amdhsa_system_vgpr_workitem_id 0
		.amdhsa_next_free_vgpr 4
		.amdhsa_next_free_sgpr 7
		.amdhsa_reserve_vcc 1
		.amdhsa_reserve_flat_scratch 0
		.amdhsa_float_round_mode_32 0
		.amdhsa_float_round_mode_16_64 0
		.amdhsa_float_denorm_mode_32 3
		.amdhsa_float_denorm_mode_16_64 3
		.amdhsa_dx10_clamp 1
		.amdhsa_ieee_mode 1
		.amdhsa_fp16_overflow 0
		.amdhsa_exception_fp_ieee_invalid_op 0
		.amdhsa_exception_fp_denorm_src 0
		.amdhsa_exception_fp_ieee_div_zero 0
		.amdhsa_exception_fp_ieee_overflow 0
		.amdhsa_exception_fp_ieee_underflow 0
		.amdhsa_exception_fp_ieee_inexact 0
		.amdhsa_exception_int_div_zero 0
	.end_amdhsa_kernel
	.section	.text._Z18vector_test_kernelI15HIP_vector_typeIxLj1EELj1ELj16EEvPT_S3_,"axG",@progbits,_Z18vector_test_kernelI15HIP_vector_typeIxLj1EELj1ELj16EEvPT_S3_,comdat
.Lfunc_end4:
	.size	_Z18vector_test_kernelI15HIP_vector_typeIxLj1EELj1ELj16EEvPT_S3_, .Lfunc_end4-_Z18vector_test_kernelI15HIP_vector_typeIxLj1EELj1ELj16EEvPT_S3_
                                        ; -- End function
	.set _Z18vector_test_kernelI15HIP_vector_typeIxLj1EELj1ELj16EEvPT_S3_.num_vgpr, 4
	.set _Z18vector_test_kernelI15HIP_vector_typeIxLj1EELj1ELj16EEvPT_S3_.num_agpr, 0
	.set _Z18vector_test_kernelI15HIP_vector_typeIxLj1EELj1ELj16EEvPT_S3_.numbered_sgpr, 7
	.set _Z18vector_test_kernelI15HIP_vector_typeIxLj1EELj1ELj16EEvPT_S3_.num_named_barrier, 0
	.set _Z18vector_test_kernelI15HIP_vector_typeIxLj1EELj1ELj16EEvPT_S3_.private_seg_size, 0
	.set _Z18vector_test_kernelI15HIP_vector_typeIxLj1EELj1ELj16EEvPT_S3_.uses_vcc, 1
	.set _Z18vector_test_kernelI15HIP_vector_typeIxLj1EELj1ELj16EEvPT_S3_.uses_flat_scratch, 0
	.set _Z18vector_test_kernelI15HIP_vector_typeIxLj1EELj1ELj16EEvPT_S3_.has_dyn_sized_stack, 0
	.set _Z18vector_test_kernelI15HIP_vector_typeIxLj1EELj1ELj16EEvPT_S3_.has_recursion, 0
	.set _Z18vector_test_kernelI15HIP_vector_typeIxLj1EELj1ELj16EEvPT_S3_.has_indirect_call, 0
	.section	.AMDGPU.csdata,"",@progbits
; Kernel info:
; codeLenInByte = 60
; TotalNumSgprs: 11
; NumVgprs: 4
; ScratchSize: 0
; MemoryBound: 0
; FloatMode: 240
; IeeeMode: 1
; LDSByteSize: 0 bytes/workgroup (compile time only)
; SGPRBlocks: 1
; VGPRBlocks: 0
; NumSGPRsForWavesPerEU: 11
; NumVGPRsForWavesPerEU: 4
; Occupancy: 10
; WaveLimiterHint : 0
; COMPUTE_PGM_RSRC2:SCRATCH_EN: 0
; COMPUTE_PGM_RSRC2:USER_SGPR: 6
; COMPUTE_PGM_RSRC2:TRAP_HANDLER: 0
; COMPUTE_PGM_RSRC2:TGID_X_EN: 1
; COMPUTE_PGM_RSRC2:TGID_Y_EN: 0
; COMPUTE_PGM_RSRC2:TGID_Z_EN: 0
; COMPUTE_PGM_RSRC2:TIDIG_COMP_CNT: 0
	.section	.text._Z18vector_test_kernelI15HIP_vector_typeImLj1EELj1ELj16EEvPT_S3_,"axG",@progbits,_Z18vector_test_kernelI15HIP_vector_typeImLj1EELj1ELj16EEvPT_S3_,comdat
	.protected	_Z18vector_test_kernelI15HIP_vector_typeImLj1EELj1ELj16EEvPT_S3_ ; -- Begin function _Z18vector_test_kernelI15HIP_vector_typeImLj1EELj1ELj16EEvPT_S3_
	.globl	_Z18vector_test_kernelI15HIP_vector_typeImLj1EELj1ELj16EEvPT_S3_
	.p2align	8
	.type	_Z18vector_test_kernelI15HIP_vector_typeImLj1EELj1ELj16EEvPT_S3_,@function
_Z18vector_test_kernelI15HIP_vector_typeImLj1EELj1ELj16EEvPT_S3_: ; @_Z18vector_test_kernelI15HIP_vector_typeImLj1EELj1ELj16EEvPT_S3_
; %bb.0:
	s_load_dwordx2 s[0:1], s[4:5], 0x8
	v_lshl_add_u32 v0, s6, 4, v0
	v_mov_b32_e32 v1, 0
	v_lshlrev_b64 v[2:3], 3, v[0:1]
	s_waitcnt lgkmcnt(0)
	v_mov_b32_e32 v0, s1
	v_add_co_u32_e32 v2, vcc, s0, v2
	v_addc_co_u32_e32 v3, vcc, v0, v3, vcc
	v_mov_b32_e32 v0, v1
	global_store_dwordx2 v[2:3], v[0:1], off
	s_endpgm
	.section	.rodata,"a",@progbits
	.p2align	6, 0x0
	.amdhsa_kernel _Z18vector_test_kernelI15HIP_vector_typeImLj1EELj1ELj16EEvPT_S3_
		.amdhsa_group_segment_fixed_size 0
		.amdhsa_private_segment_fixed_size 0
		.amdhsa_kernarg_size 16
		.amdhsa_user_sgpr_count 6
		.amdhsa_user_sgpr_private_segment_buffer 1
		.amdhsa_user_sgpr_dispatch_ptr 0
		.amdhsa_user_sgpr_queue_ptr 0
		.amdhsa_user_sgpr_kernarg_segment_ptr 1
		.amdhsa_user_sgpr_dispatch_id 0
		.amdhsa_user_sgpr_flat_scratch_init 0
		.amdhsa_user_sgpr_private_segment_size 0
		.amdhsa_uses_dynamic_stack 0
		.amdhsa_system_sgpr_private_segment_wavefront_offset 0
		.amdhsa_system_sgpr_workgroup_id_x 1
		.amdhsa_system_sgpr_workgroup_id_y 0
		.amdhsa_system_sgpr_workgroup_id_z 0
		.amdhsa_system_sgpr_workgroup_info 0
		.amdhsa_system_vgpr_workitem_id 0
		.amdhsa_next_free_vgpr 4
		.amdhsa_next_free_sgpr 7
		.amdhsa_reserve_vcc 1
		.amdhsa_reserve_flat_scratch 0
		.amdhsa_float_round_mode_32 0
		.amdhsa_float_round_mode_16_64 0
		.amdhsa_float_denorm_mode_32 3
		.amdhsa_float_denorm_mode_16_64 3
		.amdhsa_dx10_clamp 1
		.amdhsa_ieee_mode 1
		.amdhsa_fp16_overflow 0
		.amdhsa_exception_fp_ieee_invalid_op 0
		.amdhsa_exception_fp_denorm_src 0
		.amdhsa_exception_fp_ieee_div_zero 0
		.amdhsa_exception_fp_ieee_overflow 0
		.amdhsa_exception_fp_ieee_underflow 0
		.amdhsa_exception_fp_ieee_inexact 0
		.amdhsa_exception_int_div_zero 0
	.end_amdhsa_kernel
	.section	.text._Z18vector_test_kernelI15HIP_vector_typeImLj1EELj1ELj16EEvPT_S3_,"axG",@progbits,_Z18vector_test_kernelI15HIP_vector_typeImLj1EELj1ELj16EEvPT_S3_,comdat
.Lfunc_end5:
	.size	_Z18vector_test_kernelI15HIP_vector_typeImLj1EELj1ELj16EEvPT_S3_, .Lfunc_end5-_Z18vector_test_kernelI15HIP_vector_typeImLj1EELj1ELj16EEvPT_S3_
                                        ; -- End function
	.set _Z18vector_test_kernelI15HIP_vector_typeImLj1EELj1ELj16EEvPT_S3_.num_vgpr, 4
	.set _Z18vector_test_kernelI15HIP_vector_typeImLj1EELj1ELj16EEvPT_S3_.num_agpr, 0
	.set _Z18vector_test_kernelI15HIP_vector_typeImLj1EELj1ELj16EEvPT_S3_.numbered_sgpr, 7
	.set _Z18vector_test_kernelI15HIP_vector_typeImLj1EELj1ELj16EEvPT_S3_.num_named_barrier, 0
	.set _Z18vector_test_kernelI15HIP_vector_typeImLj1EELj1ELj16EEvPT_S3_.private_seg_size, 0
	.set _Z18vector_test_kernelI15HIP_vector_typeImLj1EELj1ELj16EEvPT_S3_.uses_vcc, 1
	.set _Z18vector_test_kernelI15HIP_vector_typeImLj1EELj1ELj16EEvPT_S3_.uses_flat_scratch, 0
	.set _Z18vector_test_kernelI15HIP_vector_typeImLj1EELj1ELj16EEvPT_S3_.has_dyn_sized_stack, 0
	.set _Z18vector_test_kernelI15HIP_vector_typeImLj1EELj1ELj16EEvPT_S3_.has_recursion, 0
	.set _Z18vector_test_kernelI15HIP_vector_typeImLj1EELj1ELj16EEvPT_S3_.has_indirect_call, 0
	.section	.AMDGPU.csdata,"",@progbits
; Kernel info:
; codeLenInByte = 60
; TotalNumSgprs: 11
; NumVgprs: 4
; ScratchSize: 0
; MemoryBound: 0
; FloatMode: 240
; IeeeMode: 1
; LDSByteSize: 0 bytes/workgroup (compile time only)
; SGPRBlocks: 1
; VGPRBlocks: 0
; NumSGPRsForWavesPerEU: 11
; NumVGPRsForWavesPerEU: 4
; Occupancy: 10
; WaveLimiterHint : 0
; COMPUTE_PGM_RSRC2:SCRATCH_EN: 0
; COMPUTE_PGM_RSRC2:USER_SGPR: 6
; COMPUTE_PGM_RSRC2:TRAP_HANDLER: 0
; COMPUTE_PGM_RSRC2:TGID_X_EN: 1
; COMPUTE_PGM_RSRC2:TGID_Y_EN: 0
; COMPUTE_PGM_RSRC2:TGID_Z_EN: 0
; COMPUTE_PGM_RSRC2:TIDIG_COMP_CNT: 0
	.section	.text._Z18vector_test_kernelI15HIP_vector_typeIlLj1EELj1ELj16EEvPT_S3_,"axG",@progbits,_Z18vector_test_kernelI15HIP_vector_typeIlLj1EELj1ELj16EEvPT_S3_,comdat
	.protected	_Z18vector_test_kernelI15HIP_vector_typeIlLj1EELj1ELj16EEvPT_S3_ ; -- Begin function _Z18vector_test_kernelI15HIP_vector_typeIlLj1EELj1ELj16EEvPT_S3_
	.globl	_Z18vector_test_kernelI15HIP_vector_typeIlLj1EELj1ELj16EEvPT_S3_
	.p2align	8
	.type	_Z18vector_test_kernelI15HIP_vector_typeIlLj1EELj1ELj16EEvPT_S3_,@function
_Z18vector_test_kernelI15HIP_vector_typeIlLj1EELj1ELj16EEvPT_S3_: ; @_Z18vector_test_kernelI15HIP_vector_typeIlLj1EELj1ELj16EEvPT_S3_
; %bb.0:
	s_load_dwordx2 s[0:1], s[4:5], 0x8
	v_lshl_add_u32 v0, s6, 4, v0
	v_mov_b32_e32 v1, 0
	v_lshlrev_b64 v[2:3], 3, v[0:1]
	s_waitcnt lgkmcnt(0)
	v_mov_b32_e32 v0, s1
	v_add_co_u32_e32 v2, vcc, s0, v2
	v_addc_co_u32_e32 v3, vcc, v0, v3, vcc
	v_mov_b32_e32 v0, v1
	global_store_dwordx2 v[2:3], v[0:1], off
	s_endpgm
	.section	.rodata,"a",@progbits
	.p2align	6, 0x0
	.amdhsa_kernel _Z18vector_test_kernelI15HIP_vector_typeIlLj1EELj1ELj16EEvPT_S3_
		.amdhsa_group_segment_fixed_size 0
		.amdhsa_private_segment_fixed_size 0
		.amdhsa_kernarg_size 16
		.amdhsa_user_sgpr_count 6
		.amdhsa_user_sgpr_private_segment_buffer 1
		.amdhsa_user_sgpr_dispatch_ptr 0
		.amdhsa_user_sgpr_queue_ptr 0
		.amdhsa_user_sgpr_kernarg_segment_ptr 1
		.amdhsa_user_sgpr_dispatch_id 0
		.amdhsa_user_sgpr_flat_scratch_init 0
		.amdhsa_user_sgpr_private_segment_size 0
		.amdhsa_uses_dynamic_stack 0
		.amdhsa_system_sgpr_private_segment_wavefront_offset 0
		.amdhsa_system_sgpr_workgroup_id_x 1
		.amdhsa_system_sgpr_workgroup_id_y 0
		.amdhsa_system_sgpr_workgroup_id_z 0
		.amdhsa_system_sgpr_workgroup_info 0
		.amdhsa_system_vgpr_workitem_id 0
		.amdhsa_next_free_vgpr 4
		.amdhsa_next_free_sgpr 7
		.amdhsa_reserve_vcc 1
		.amdhsa_reserve_flat_scratch 0
		.amdhsa_float_round_mode_32 0
		.amdhsa_float_round_mode_16_64 0
		.amdhsa_float_denorm_mode_32 3
		.amdhsa_float_denorm_mode_16_64 3
		.amdhsa_dx10_clamp 1
		.amdhsa_ieee_mode 1
		.amdhsa_fp16_overflow 0
		.amdhsa_exception_fp_ieee_invalid_op 0
		.amdhsa_exception_fp_denorm_src 0
		.amdhsa_exception_fp_ieee_div_zero 0
		.amdhsa_exception_fp_ieee_overflow 0
		.amdhsa_exception_fp_ieee_underflow 0
		.amdhsa_exception_fp_ieee_inexact 0
		.amdhsa_exception_int_div_zero 0
	.end_amdhsa_kernel
	.section	.text._Z18vector_test_kernelI15HIP_vector_typeIlLj1EELj1ELj16EEvPT_S3_,"axG",@progbits,_Z18vector_test_kernelI15HIP_vector_typeIlLj1EELj1ELj16EEvPT_S3_,comdat
.Lfunc_end6:
	.size	_Z18vector_test_kernelI15HIP_vector_typeIlLj1EELj1ELj16EEvPT_S3_, .Lfunc_end6-_Z18vector_test_kernelI15HIP_vector_typeIlLj1EELj1ELj16EEvPT_S3_
                                        ; -- End function
	.set _Z18vector_test_kernelI15HIP_vector_typeIlLj1EELj1ELj16EEvPT_S3_.num_vgpr, 4
	.set _Z18vector_test_kernelI15HIP_vector_typeIlLj1EELj1ELj16EEvPT_S3_.num_agpr, 0
	.set _Z18vector_test_kernelI15HIP_vector_typeIlLj1EELj1ELj16EEvPT_S3_.numbered_sgpr, 7
	.set _Z18vector_test_kernelI15HIP_vector_typeIlLj1EELj1ELj16EEvPT_S3_.num_named_barrier, 0
	.set _Z18vector_test_kernelI15HIP_vector_typeIlLj1EELj1ELj16EEvPT_S3_.private_seg_size, 0
	.set _Z18vector_test_kernelI15HIP_vector_typeIlLj1EELj1ELj16EEvPT_S3_.uses_vcc, 1
	.set _Z18vector_test_kernelI15HIP_vector_typeIlLj1EELj1ELj16EEvPT_S3_.uses_flat_scratch, 0
	.set _Z18vector_test_kernelI15HIP_vector_typeIlLj1EELj1ELj16EEvPT_S3_.has_dyn_sized_stack, 0
	.set _Z18vector_test_kernelI15HIP_vector_typeIlLj1EELj1ELj16EEvPT_S3_.has_recursion, 0
	.set _Z18vector_test_kernelI15HIP_vector_typeIlLj1EELj1ELj16EEvPT_S3_.has_indirect_call, 0
	.section	.AMDGPU.csdata,"",@progbits
; Kernel info:
; codeLenInByte = 60
; TotalNumSgprs: 11
; NumVgprs: 4
; ScratchSize: 0
; MemoryBound: 0
; FloatMode: 240
; IeeeMode: 1
; LDSByteSize: 0 bytes/workgroup (compile time only)
; SGPRBlocks: 1
; VGPRBlocks: 0
; NumSGPRsForWavesPerEU: 11
; NumVGPRsForWavesPerEU: 4
; Occupancy: 10
; WaveLimiterHint : 0
; COMPUTE_PGM_RSRC2:SCRATCH_EN: 0
; COMPUTE_PGM_RSRC2:USER_SGPR: 6
; COMPUTE_PGM_RSRC2:TRAP_HANDLER: 0
; COMPUTE_PGM_RSRC2:TGID_X_EN: 1
; COMPUTE_PGM_RSRC2:TGID_Y_EN: 0
; COMPUTE_PGM_RSRC2:TGID_Z_EN: 0
; COMPUTE_PGM_RSRC2:TIDIG_COMP_CNT: 0
	.section	.text._Z18vector_test_kernelI15HIP_vector_typeIjLj1EELj1ELj16EEvPT_S3_,"axG",@progbits,_Z18vector_test_kernelI15HIP_vector_typeIjLj1EELj1ELj16EEvPT_S3_,comdat
	.protected	_Z18vector_test_kernelI15HIP_vector_typeIjLj1EELj1ELj16EEvPT_S3_ ; -- Begin function _Z18vector_test_kernelI15HIP_vector_typeIjLj1EELj1ELj16EEvPT_S3_
	.globl	_Z18vector_test_kernelI15HIP_vector_typeIjLj1EELj1ELj16EEvPT_S3_
	.p2align	8
	.type	_Z18vector_test_kernelI15HIP_vector_typeIjLj1EELj1ELj16EEvPT_S3_,@function
_Z18vector_test_kernelI15HIP_vector_typeIjLj1EELj1ELj16EEvPT_S3_: ; @_Z18vector_test_kernelI15HIP_vector_typeIjLj1EELj1ELj16EEvPT_S3_
; %bb.0:
	s_load_dwordx2 s[0:1], s[4:5], 0x8
	v_lshl_add_u32 v0, s6, 4, v0
	v_mov_b32_e32 v1, 0
	v_lshlrev_b64 v[2:3], 2, v[0:1]
	s_waitcnt lgkmcnt(0)
	v_mov_b32_e32 v0, s1
	v_add_co_u32_e32 v2, vcc, s0, v2
	v_addc_co_u32_e32 v3, vcc, v0, v3, vcc
	global_store_dword v[2:3], v1, off
	s_endpgm
	.section	.rodata,"a",@progbits
	.p2align	6, 0x0
	.amdhsa_kernel _Z18vector_test_kernelI15HIP_vector_typeIjLj1EELj1ELj16EEvPT_S3_
		.amdhsa_group_segment_fixed_size 0
		.amdhsa_private_segment_fixed_size 0
		.amdhsa_kernarg_size 16
		.amdhsa_user_sgpr_count 6
		.amdhsa_user_sgpr_private_segment_buffer 1
		.amdhsa_user_sgpr_dispatch_ptr 0
		.amdhsa_user_sgpr_queue_ptr 0
		.amdhsa_user_sgpr_kernarg_segment_ptr 1
		.amdhsa_user_sgpr_dispatch_id 0
		.amdhsa_user_sgpr_flat_scratch_init 0
		.amdhsa_user_sgpr_private_segment_size 0
		.amdhsa_uses_dynamic_stack 0
		.amdhsa_system_sgpr_private_segment_wavefront_offset 0
		.amdhsa_system_sgpr_workgroup_id_x 1
		.amdhsa_system_sgpr_workgroup_id_y 0
		.amdhsa_system_sgpr_workgroup_id_z 0
		.amdhsa_system_sgpr_workgroup_info 0
		.amdhsa_system_vgpr_workitem_id 0
		.amdhsa_next_free_vgpr 4
		.amdhsa_next_free_sgpr 7
		.amdhsa_reserve_vcc 1
		.amdhsa_reserve_flat_scratch 0
		.amdhsa_float_round_mode_32 0
		.amdhsa_float_round_mode_16_64 0
		.amdhsa_float_denorm_mode_32 3
		.amdhsa_float_denorm_mode_16_64 3
		.amdhsa_dx10_clamp 1
		.amdhsa_ieee_mode 1
		.amdhsa_fp16_overflow 0
		.amdhsa_exception_fp_ieee_invalid_op 0
		.amdhsa_exception_fp_denorm_src 0
		.amdhsa_exception_fp_ieee_div_zero 0
		.amdhsa_exception_fp_ieee_overflow 0
		.amdhsa_exception_fp_ieee_underflow 0
		.amdhsa_exception_fp_ieee_inexact 0
		.amdhsa_exception_int_div_zero 0
	.end_amdhsa_kernel
	.section	.text._Z18vector_test_kernelI15HIP_vector_typeIjLj1EELj1ELj16EEvPT_S3_,"axG",@progbits,_Z18vector_test_kernelI15HIP_vector_typeIjLj1EELj1ELj16EEvPT_S3_,comdat
.Lfunc_end7:
	.size	_Z18vector_test_kernelI15HIP_vector_typeIjLj1EELj1ELj16EEvPT_S3_, .Lfunc_end7-_Z18vector_test_kernelI15HIP_vector_typeIjLj1EELj1ELj16EEvPT_S3_
                                        ; -- End function
	.set _Z18vector_test_kernelI15HIP_vector_typeIjLj1EELj1ELj16EEvPT_S3_.num_vgpr, 4
	.set _Z18vector_test_kernelI15HIP_vector_typeIjLj1EELj1ELj16EEvPT_S3_.num_agpr, 0
	.set _Z18vector_test_kernelI15HIP_vector_typeIjLj1EELj1ELj16EEvPT_S3_.numbered_sgpr, 7
	.set _Z18vector_test_kernelI15HIP_vector_typeIjLj1EELj1ELj16EEvPT_S3_.num_named_barrier, 0
	.set _Z18vector_test_kernelI15HIP_vector_typeIjLj1EELj1ELj16EEvPT_S3_.private_seg_size, 0
	.set _Z18vector_test_kernelI15HIP_vector_typeIjLj1EELj1ELj16EEvPT_S3_.uses_vcc, 1
	.set _Z18vector_test_kernelI15HIP_vector_typeIjLj1EELj1ELj16EEvPT_S3_.uses_flat_scratch, 0
	.set _Z18vector_test_kernelI15HIP_vector_typeIjLj1EELj1ELj16EEvPT_S3_.has_dyn_sized_stack, 0
	.set _Z18vector_test_kernelI15HIP_vector_typeIjLj1EELj1ELj16EEvPT_S3_.has_recursion, 0
	.set _Z18vector_test_kernelI15HIP_vector_typeIjLj1EELj1ELj16EEvPT_S3_.has_indirect_call, 0
	.section	.AMDGPU.csdata,"",@progbits
; Kernel info:
; codeLenInByte = 56
; TotalNumSgprs: 11
; NumVgprs: 4
; ScratchSize: 0
; MemoryBound: 0
; FloatMode: 240
; IeeeMode: 1
; LDSByteSize: 0 bytes/workgroup (compile time only)
; SGPRBlocks: 1
; VGPRBlocks: 0
; NumSGPRsForWavesPerEU: 11
; NumVGPRsForWavesPerEU: 4
; Occupancy: 10
; WaveLimiterHint : 0
; COMPUTE_PGM_RSRC2:SCRATCH_EN: 0
; COMPUTE_PGM_RSRC2:USER_SGPR: 6
; COMPUTE_PGM_RSRC2:TRAP_HANDLER: 0
; COMPUTE_PGM_RSRC2:TGID_X_EN: 1
; COMPUTE_PGM_RSRC2:TGID_Y_EN: 0
; COMPUTE_PGM_RSRC2:TGID_Z_EN: 0
; COMPUTE_PGM_RSRC2:TIDIG_COMP_CNT: 0
	.section	.text._Z18vector_test_kernelI15HIP_vector_typeIiLj1EELj1ELj16EEvPT_S3_,"axG",@progbits,_Z18vector_test_kernelI15HIP_vector_typeIiLj1EELj1ELj16EEvPT_S3_,comdat
	.protected	_Z18vector_test_kernelI15HIP_vector_typeIiLj1EELj1ELj16EEvPT_S3_ ; -- Begin function _Z18vector_test_kernelI15HIP_vector_typeIiLj1EELj1ELj16EEvPT_S3_
	.globl	_Z18vector_test_kernelI15HIP_vector_typeIiLj1EELj1ELj16EEvPT_S3_
	.p2align	8
	.type	_Z18vector_test_kernelI15HIP_vector_typeIiLj1EELj1ELj16EEvPT_S3_,@function
_Z18vector_test_kernelI15HIP_vector_typeIiLj1EELj1ELj16EEvPT_S3_: ; @_Z18vector_test_kernelI15HIP_vector_typeIiLj1EELj1ELj16EEvPT_S3_
; %bb.0:
	s_load_dwordx2 s[0:1], s[4:5], 0x8
	v_lshl_add_u32 v0, s6, 4, v0
	v_mov_b32_e32 v1, 0
	v_lshlrev_b64 v[2:3], 2, v[0:1]
	s_waitcnt lgkmcnt(0)
	v_mov_b32_e32 v0, s1
	v_add_co_u32_e32 v2, vcc, s0, v2
	v_addc_co_u32_e32 v3, vcc, v0, v3, vcc
	global_store_dword v[2:3], v1, off
	s_endpgm
	.section	.rodata,"a",@progbits
	.p2align	6, 0x0
	.amdhsa_kernel _Z18vector_test_kernelI15HIP_vector_typeIiLj1EELj1ELj16EEvPT_S3_
		.amdhsa_group_segment_fixed_size 0
		.amdhsa_private_segment_fixed_size 0
		.amdhsa_kernarg_size 16
		.amdhsa_user_sgpr_count 6
		.amdhsa_user_sgpr_private_segment_buffer 1
		.amdhsa_user_sgpr_dispatch_ptr 0
		.amdhsa_user_sgpr_queue_ptr 0
		.amdhsa_user_sgpr_kernarg_segment_ptr 1
		.amdhsa_user_sgpr_dispatch_id 0
		.amdhsa_user_sgpr_flat_scratch_init 0
		.amdhsa_user_sgpr_private_segment_size 0
		.amdhsa_uses_dynamic_stack 0
		.amdhsa_system_sgpr_private_segment_wavefront_offset 0
		.amdhsa_system_sgpr_workgroup_id_x 1
		.amdhsa_system_sgpr_workgroup_id_y 0
		.amdhsa_system_sgpr_workgroup_id_z 0
		.amdhsa_system_sgpr_workgroup_info 0
		.amdhsa_system_vgpr_workitem_id 0
		.amdhsa_next_free_vgpr 4
		.amdhsa_next_free_sgpr 7
		.amdhsa_reserve_vcc 1
		.amdhsa_reserve_flat_scratch 0
		.amdhsa_float_round_mode_32 0
		.amdhsa_float_round_mode_16_64 0
		.amdhsa_float_denorm_mode_32 3
		.amdhsa_float_denorm_mode_16_64 3
		.amdhsa_dx10_clamp 1
		.amdhsa_ieee_mode 1
		.amdhsa_fp16_overflow 0
		.amdhsa_exception_fp_ieee_invalid_op 0
		.amdhsa_exception_fp_denorm_src 0
		.amdhsa_exception_fp_ieee_div_zero 0
		.amdhsa_exception_fp_ieee_overflow 0
		.amdhsa_exception_fp_ieee_underflow 0
		.amdhsa_exception_fp_ieee_inexact 0
		.amdhsa_exception_int_div_zero 0
	.end_amdhsa_kernel
	.section	.text._Z18vector_test_kernelI15HIP_vector_typeIiLj1EELj1ELj16EEvPT_S3_,"axG",@progbits,_Z18vector_test_kernelI15HIP_vector_typeIiLj1EELj1ELj16EEvPT_S3_,comdat
.Lfunc_end8:
	.size	_Z18vector_test_kernelI15HIP_vector_typeIiLj1EELj1ELj16EEvPT_S3_, .Lfunc_end8-_Z18vector_test_kernelI15HIP_vector_typeIiLj1EELj1ELj16EEvPT_S3_
                                        ; -- End function
	.set _Z18vector_test_kernelI15HIP_vector_typeIiLj1EELj1ELj16EEvPT_S3_.num_vgpr, 4
	.set _Z18vector_test_kernelI15HIP_vector_typeIiLj1EELj1ELj16EEvPT_S3_.num_agpr, 0
	.set _Z18vector_test_kernelI15HIP_vector_typeIiLj1EELj1ELj16EEvPT_S3_.numbered_sgpr, 7
	.set _Z18vector_test_kernelI15HIP_vector_typeIiLj1EELj1ELj16EEvPT_S3_.num_named_barrier, 0
	.set _Z18vector_test_kernelI15HIP_vector_typeIiLj1EELj1ELj16EEvPT_S3_.private_seg_size, 0
	.set _Z18vector_test_kernelI15HIP_vector_typeIiLj1EELj1ELj16EEvPT_S3_.uses_vcc, 1
	.set _Z18vector_test_kernelI15HIP_vector_typeIiLj1EELj1ELj16EEvPT_S3_.uses_flat_scratch, 0
	.set _Z18vector_test_kernelI15HIP_vector_typeIiLj1EELj1ELj16EEvPT_S3_.has_dyn_sized_stack, 0
	.set _Z18vector_test_kernelI15HIP_vector_typeIiLj1EELj1ELj16EEvPT_S3_.has_recursion, 0
	.set _Z18vector_test_kernelI15HIP_vector_typeIiLj1EELj1ELj16EEvPT_S3_.has_indirect_call, 0
	.section	.AMDGPU.csdata,"",@progbits
; Kernel info:
; codeLenInByte = 56
; TotalNumSgprs: 11
; NumVgprs: 4
; ScratchSize: 0
; MemoryBound: 0
; FloatMode: 240
; IeeeMode: 1
; LDSByteSize: 0 bytes/workgroup (compile time only)
; SGPRBlocks: 1
; VGPRBlocks: 0
; NumSGPRsForWavesPerEU: 11
; NumVGPRsForWavesPerEU: 4
; Occupancy: 10
; WaveLimiterHint : 0
; COMPUTE_PGM_RSRC2:SCRATCH_EN: 0
; COMPUTE_PGM_RSRC2:USER_SGPR: 6
; COMPUTE_PGM_RSRC2:TRAP_HANDLER: 0
; COMPUTE_PGM_RSRC2:TGID_X_EN: 1
; COMPUTE_PGM_RSRC2:TGID_Y_EN: 0
; COMPUTE_PGM_RSRC2:TGID_Z_EN: 0
; COMPUTE_PGM_RSRC2:TIDIG_COMP_CNT: 0
	.section	.text._Z18vector_test_kernelI15HIP_vector_typeItLj1EELj1ELj16EEvPT_S3_,"axG",@progbits,_Z18vector_test_kernelI15HIP_vector_typeItLj1EELj1ELj16EEvPT_S3_,comdat
	.protected	_Z18vector_test_kernelI15HIP_vector_typeItLj1EELj1ELj16EEvPT_S3_ ; -- Begin function _Z18vector_test_kernelI15HIP_vector_typeItLj1EELj1ELj16EEvPT_S3_
	.globl	_Z18vector_test_kernelI15HIP_vector_typeItLj1EELj1ELj16EEvPT_S3_
	.p2align	8
	.type	_Z18vector_test_kernelI15HIP_vector_typeItLj1EELj1ELj16EEvPT_S3_,@function
_Z18vector_test_kernelI15HIP_vector_typeItLj1EELj1ELj16EEvPT_S3_: ; @_Z18vector_test_kernelI15HIP_vector_typeItLj1EELj1ELj16EEvPT_S3_
; %bb.0:
	s_load_dwordx2 s[0:1], s[4:5], 0x8
	v_lshl_add_u32 v0, s6, 4, v0
	v_mov_b32_e32 v1, 0
	v_lshlrev_b64 v[2:3], 1, v[0:1]
	s_waitcnt lgkmcnt(0)
	v_mov_b32_e32 v0, s1
	v_add_co_u32_e32 v2, vcc, s0, v2
	v_addc_co_u32_e32 v3, vcc, v0, v3, vcc
	global_store_short v[2:3], v1, off
	s_endpgm
	.section	.rodata,"a",@progbits
	.p2align	6, 0x0
	.amdhsa_kernel _Z18vector_test_kernelI15HIP_vector_typeItLj1EELj1ELj16EEvPT_S3_
		.amdhsa_group_segment_fixed_size 0
		.amdhsa_private_segment_fixed_size 0
		.amdhsa_kernarg_size 16
		.amdhsa_user_sgpr_count 6
		.amdhsa_user_sgpr_private_segment_buffer 1
		.amdhsa_user_sgpr_dispatch_ptr 0
		.amdhsa_user_sgpr_queue_ptr 0
		.amdhsa_user_sgpr_kernarg_segment_ptr 1
		.amdhsa_user_sgpr_dispatch_id 0
		.amdhsa_user_sgpr_flat_scratch_init 0
		.amdhsa_user_sgpr_private_segment_size 0
		.amdhsa_uses_dynamic_stack 0
		.amdhsa_system_sgpr_private_segment_wavefront_offset 0
		.amdhsa_system_sgpr_workgroup_id_x 1
		.amdhsa_system_sgpr_workgroup_id_y 0
		.amdhsa_system_sgpr_workgroup_id_z 0
		.amdhsa_system_sgpr_workgroup_info 0
		.amdhsa_system_vgpr_workitem_id 0
		.amdhsa_next_free_vgpr 4
		.amdhsa_next_free_sgpr 7
		.amdhsa_reserve_vcc 1
		.amdhsa_reserve_flat_scratch 0
		.amdhsa_float_round_mode_32 0
		.amdhsa_float_round_mode_16_64 0
		.amdhsa_float_denorm_mode_32 3
		.amdhsa_float_denorm_mode_16_64 3
		.amdhsa_dx10_clamp 1
		.amdhsa_ieee_mode 1
		.amdhsa_fp16_overflow 0
		.amdhsa_exception_fp_ieee_invalid_op 0
		.amdhsa_exception_fp_denorm_src 0
		.amdhsa_exception_fp_ieee_div_zero 0
		.amdhsa_exception_fp_ieee_overflow 0
		.amdhsa_exception_fp_ieee_underflow 0
		.amdhsa_exception_fp_ieee_inexact 0
		.amdhsa_exception_int_div_zero 0
	.end_amdhsa_kernel
	.section	.text._Z18vector_test_kernelI15HIP_vector_typeItLj1EELj1ELj16EEvPT_S3_,"axG",@progbits,_Z18vector_test_kernelI15HIP_vector_typeItLj1EELj1ELj16EEvPT_S3_,comdat
.Lfunc_end9:
	.size	_Z18vector_test_kernelI15HIP_vector_typeItLj1EELj1ELj16EEvPT_S3_, .Lfunc_end9-_Z18vector_test_kernelI15HIP_vector_typeItLj1EELj1ELj16EEvPT_S3_
                                        ; -- End function
	.set _Z18vector_test_kernelI15HIP_vector_typeItLj1EELj1ELj16EEvPT_S3_.num_vgpr, 4
	.set _Z18vector_test_kernelI15HIP_vector_typeItLj1EELj1ELj16EEvPT_S3_.num_agpr, 0
	.set _Z18vector_test_kernelI15HIP_vector_typeItLj1EELj1ELj16EEvPT_S3_.numbered_sgpr, 7
	.set _Z18vector_test_kernelI15HIP_vector_typeItLj1EELj1ELj16EEvPT_S3_.num_named_barrier, 0
	.set _Z18vector_test_kernelI15HIP_vector_typeItLj1EELj1ELj16EEvPT_S3_.private_seg_size, 0
	.set _Z18vector_test_kernelI15HIP_vector_typeItLj1EELj1ELj16EEvPT_S3_.uses_vcc, 1
	.set _Z18vector_test_kernelI15HIP_vector_typeItLj1EELj1ELj16EEvPT_S3_.uses_flat_scratch, 0
	.set _Z18vector_test_kernelI15HIP_vector_typeItLj1EELj1ELj16EEvPT_S3_.has_dyn_sized_stack, 0
	.set _Z18vector_test_kernelI15HIP_vector_typeItLj1EELj1ELj16EEvPT_S3_.has_recursion, 0
	.set _Z18vector_test_kernelI15HIP_vector_typeItLj1EELj1ELj16EEvPT_S3_.has_indirect_call, 0
	.section	.AMDGPU.csdata,"",@progbits
; Kernel info:
; codeLenInByte = 56
; TotalNumSgprs: 11
; NumVgprs: 4
; ScratchSize: 0
; MemoryBound: 0
; FloatMode: 240
; IeeeMode: 1
; LDSByteSize: 0 bytes/workgroup (compile time only)
; SGPRBlocks: 1
; VGPRBlocks: 0
; NumSGPRsForWavesPerEU: 11
; NumVGPRsForWavesPerEU: 4
; Occupancy: 10
; WaveLimiterHint : 0
; COMPUTE_PGM_RSRC2:SCRATCH_EN: 0
; COMPUTE_PGM_RSRC2:USER_SGPR: 6
; COMPUTE_PGM_RSRC2:TRAP_HANDLER: 0
; COMPUTE_PGM_RSRC2:TGID_X_EN: 1
; COMPUTE_PGM_RSRC2:TGID_Y_EN: 0
; COMPUTE_PGM_RSRC2:TGID_Z_EN: 0
; COMPUTE_PGM_RSRC2:TIDIG_COMP_CNT: 0
	.section	.text._Z18vector_test_kernelI15HIP_vector_typeIsLj1EELj1ELj16EEvPT_S3_,"axG",@progbits,_Z18vector_test_kernelI15HIP_vector_typeIsLj1EELj1ELj16EEvPT_S3_,comdat
	.protected	_Z18vector_test_kernelI15HIP_vector_typeIsLj1EELj1ELj16EEvPT_S3_ ; -- Begin function _Z18vector_test_kernelI15HIP_vector_typeIsLj1EELj1ELj16EEvPT_S3_
	.globl	_Z18vector_test_kernelI15HIP_vector_typeIsLj1EELj1ELj16EEvPT_S3_
	.p2align	8
	.type	_Z18vector_test_kernelI15HIP_vector_typeIsLj1EELj1ELj16EEvPT_S3_,@function
_Z18vector_test_kernelI15HIP_vector_typeIsLj1EELj1ELj16EEvPT_S3_: ; @_Z18vector_test_kernelI15HIP_vector_typeIsLj1EELj1ELj16EEvPT_S3_
; %bb.0:
	s_load_dwordx2 s[0:1], s[4:5], 0x8
	v_lshl_add_u32 v0, s6, 4, v0
	v_mov_b32_e32 v1, 0
	v_lshlrev_b64 v[2:3], 1, v[0:1]
	s_waitcnt lgkmcnt(0)
	v_mov_b32_e32 v0, s1
	v_add_co_u32_e32 v2, vcc, s0, v2
	v_addc_co_u32_e32 v3, vcc, v0, v3, vcc
	global_store_short v[2:3], v1, off
	s_endpgm
	.section	.rodata,"a",@progbits
	.p2align	6, 0x0
	.amdhsa_kernel _Z18vector_test_kernelI15HIP_vector_typeIsLj1EELj1ELj16EEvPT_S3_
		.amdhsa_group_segment_fixed_size 0
		.amdhsa_private_segment_fixed_size 0
		.amdhsa_kernarg_size 16
		.amdhsa_user_sgpr_count 6
		.amdhsa_user_sgpr_private_segment_buffer 1
		.amdhsa_user_sgpr_dispatch_ptr 0
		.amdhsa_user_sgpr_queue_ptr 0
		.amdhsa_user_sgpr_kernarg_segment_ptr 1
		.amdhsa_user_sgpr_dispatch_id 0
		.amdhsa_user_sgpr_flat_scratch_init 0
		.amdhsa_user_sgpr_private_segment_size 0
		.amdhsa_uses_dynamic_stack 0
		.amdhsa_system_sgpr_private_segment_wavefront_offset 0
		.amdhsa_system_sgpr_workgroup_id_x 1
		.amdhsa_system_sgpr_workgroup_id_y 0
		.amdhsa_system_sgpr_workgroup_id_z 0
		.amdhsa_system_sgpr_workgroup_info 0
		.amdhsa_system_vgpr_workitem_id 0
		.amdhsa_next_free_vgpr 4
		.amdhsa_next_free_sgpr 7
		.amdhsa_reserve_vcc 1
		.amdhsa_reserve_flat_scratch 0
		.amdhsa_float_round_mode_32 0
		.amdhsa_float_round_mode_16_64 0
		.amdhsa_float_denorm_mode_32 3
		.amdhsa_float_denorm_mode_16_64 3
		.amdhsa_dx10_clamp 1
		.amdhsa_ieee_mode 1
		.amdhsa_fp16_overflow 0
		.amdhsa_exception_fp_ieee_invalid_op 0
		.amdhsa_exception_fp_denorm_src 0
		.amdhsa_exception_fp_ieee_div_zero 0
		.amdhsa_exception_fp_ieee_overflow 0
		.amdhsa_exception_fp_ieee_underflow 0
		.amdhsa_exception_fp_ieee_inexact 0
		.amdhsa_exception_int_div_zero 0
	.end_amdhsa_kernel
	.section	.text._Z18vector_test_kernelI15HIP_vector_typeIsLj1EELj1ELj16EEvPT_S3_,"axG",@progbits,_Z18vector_test_kernelI15HIP_vector_typeIsLj1EELj1ELj16EEvPT_S3_,comdat
.Lfunc_end10:
	.size	_Z18vector_test_kernelI15HIP_vector_typeIsLj1EELj1ELj16EEvPT_S3_, .Lfunc_end10-_Z18vector_test_kernelI15HIP_vector_typeIsLj1EELj1ELj16EEvPT_S3_
                                        ; -- End function
	.set _Z18vector_test_kernelI15HIP_vector_typeIsLj1EELj1ELj16EEvPT_S3_.num_vgpr, 4
	.set _Z18vector_test_kernelI15HIP_vector_typeIsLj1EELj1ELj16EEvPT_S3_.num_agpr, 0
	.set _Z18vector_test_kernelI15HIP_vector_typeIsLj1EELj1ELj16EEvPT_S3_.numbered_sgpr, 7
	.set _Z18vector_test_kernelI15HIP_vector_typeIsLj1EELj1ELj16EEvPT_S3_.num_named_barrier, 0
	.set _Z18vector_test_kernelI15HIP_vector_typeIsLj1EELj1ELj16EEvPT_S3_.private_seg_size, 0
	.set _Z18vector_test_kernelI15HIP_vector_typeIsLj1EELj1ELj16EEvPT_S3_.uses_vcc, 1
	.set _Z18vector_test_kernelI15HIP_vector_typeIsLj1EELj1ELj16EEvPT_S3_.uses_flat_scratch, 0
	.set _Z18vector_test_kernelI15HIP_vector_typeIsLj1EELj1ELj16EEvPT_S3_.has_dyn_sized_stack, 0
	.set _Z18vector_test_kernelI15HIP_vector_typeIsLj1EELj1ELj16EEvPT_S3_.has_recursion, 0
	.set _Z18vector_test_kernelI15HIP_vector_typeIsLj1EELj1ELj16EEvPT_S3_.has_indirect_call, 0
	.section	.AMDGPU.csdata,"",@progbits
; Kernel info:
; codeLenInByte = 56
; TotalNumSgprs: 11
; NumVgprs: 4
; ScratchSize: 0
; MemoryBound: 0
; FloatMode: 240
; IeeeMode: 1
; LDSByteSize: 0 bytes/workgroup (compile time only)
; SGPRBlocks: 1
; VGPRBlocks: 0
; NumSGPRsForWavesPerEU: 11
; NumVGPRsForWavesPerEU: 4
; Occupancy: 10
; WaveLimiterHint : 0
; COMPUTE_PGM_RSRC2:SCRATCH_EN: 0
; COMPUTE_PGM_RSRC2:USER_SGPR: 6
; COMPUTE_PGM_RSRC2:TRAP_HANDLER: 0
; COMPUTE_PGM_RSRC2:TGID_X_EN: 1
; COMPUTE_PGM_RSRC2:TGID_Y_EN: 0
; COMPUTE_PGM_RSRC2:TGID_Z_EN: 0
; COMPUTE_PGM_RSRC2:TIDIG_COMP_CNT: 0
	.section	.text._Z18vector_test_kernelI15HIP_vector_typeIcLj1EELj1ELj16EEvPT_S3_,"axG",@progbits,_Z18vector_test_kernelI15HIP_vector_typeIcLj1EELj1ELj16EEvPT_S3_,comdat
	.protected	_Z18vector_test_kernelI15HIP_vector_typeIcLj1EELj1ELj16EEvPT_S3_ ; -- Begin function _Z18vector_test_kernelI15HIP_vector_typeIcLj1EELj1ELj16EEvPT_S3_
	.globl	_Z18vector_test_kernelI15HIP_vector_typeIcLj1EELj1ELj16EEvPT_S3_
	.p2align	8
	.type	_Z18vector_test_kernelI15HIP_vector_typeIcLj1EELj1ELj16EEvPT_S3_,@function
_Z18vector_test_kernelI15HIP_vector_typeIcLj1EELj1ELj16EEvPT_S3_: ; @_Z18vector_test_kernelI15HIP_vector_typeIcLj1EELj1ELj16EEvPT_S3_
; %bb.0:
	s_load_dwordx2 s[0:1], s[4:5], 0x8
	v_lshl_add_u32 v0, s6, 4, v0
	v_mov_b32_e32 v1, 0
	s_waitcnt lgkmcnt(0)
	global_store_byte v0, v1, s[0:1]
	s_endpgm
	.section	.rodata,"a",@progbits
	.p2align	6, 0x0
	.amdhsa_kernel _Z18vector_test_kernelI15HIP_vector_typeIcLj1EELj1ELj16EEvPT_S3_
		.amdhsa_group_segment_fixed_size 0
		.amdhsa_private_segment_fixed_size 0
		.amdhsa_kernarg_size 16
		.amdhsa_user_sgpr_count 6
		.amdhsa_user_sgpr_private_segment_buffer 1
		.amdhsa_user_sgpr_dispatch_ptr 0
		.amdhsa_user_sgpr_queue_ptr 0
		.amdhsa_user_sgpr_kernarg_segment_ptr 1
		.amdhsa_user_sgpr_dispatch_id 0
		.amdhsa_user_sgpr_flat_scratch_init 0
		.amdhsa_user_sgpr_private_segment_size 0
		.amdhsa_uses_dynamic_stack 0
		.amdhsa_system_sgpr_private_segment_wavefront_offset 0
		.amdhsa_system_sgpr_workgroup_id_x 1
		.amdhsa_system_sgpr_workgroup_id_y 0
		.amdhsa_system_sgpr_workgroup_id_z 0
		.amdhsa_system_sgpr_workgroup_info 0
		.amdhsa_system_vgpr_workitem_id 0
		.amdhsa_next_free_vgpr 2
		.amdhsa_next_free_sgpr 7
		.amdhsa_reserve_vcc 0
		.amdhsa_reserve_flat_scratch 0
		.amdhsa_float_round_mode_32 0
		.amdhsa_float_round_mode_16_64 0
		.amdhsa_float_denorm_mode_32 3
		.amdhsa_float_denorm_mode_16_64 3
		.amdhsa_dx10_clamp 1
		.amdhsa_ieee_mode 1
		.amdhsa_fp16_overflow 0
		.amdhsa_exception_fp_ieee_invalid_op 0
		.amdhsa_exception_fp_denorm_src 0
		.amdhsa_exception_fp_ieee_div_zero 0
		.amdhsa_exception_fp_ieee_overflow 0
		.amdhsa_exception_fp_ieee_underflow 0
		.amdhsa_exception_fp_ieee_inexact 0
		.amdhsa_exception_int_div_zero 0
	.end_amdhsa_kernel
	.section	.text._Z18vector_test_kernelI15HIP_vector_typeIcLj1EELj1ELj16EEvPT_S3_,"axG",@progbits,_Z18vector_test_kernelI15HIP_vector_typeIcLj1EELj1ELj16EEvPT_S3_,comdat
.Lfunc_end11:
	.size	_Z18vector_test_kernelI15HIP_vector_typeIcLj1EELj1ELj16EEvPT_S3_, .Lfunc_end11-_Z18vector_test_kernelI15HIP_vector_typeIcLj1EELj1ELj16EEvPT_S3_
                                        ; -- End function
	.set _Z18vector_test_kernelI15HIP_vector_typeIcLj1EELj1ELj16EEvPT_S3_.num_vgpr, 2
	.set _Z18vector_test_kernelI15HIP_vector_typeIcLj1EELj1ELj16EEvPT_S3_.num_agpr, 0
	.set _Z18vector_test_kernelI15HIP_vector_typeIcLj1EELj1ELj16EEvPT_S3_.numbered_sgpr, 7
	.set _Z18vector_test_kernelI15HIP_vector_typeIcLj1EELj1ELj16EEvPT_S3_.num_named_barrier, 0
	.set _Z18vector_test_kernelI15HIP_vector_typeIcLj1EELj1ELj16EEvPT_S3_.private_seg_size, 0
	.set _Z18vector_test_kernelI15HIP_vector_typeIcLj1EELj1ELj16EEvPT_S3_.uses_vcc, 0
	.set _Z18vector_test_kernelI15HIP_vector_typeIcLj1EELj1ELj16EEvPT_S3_.uses_flat_scratch, 0
	.set _Z18vector_test_kernelI15HIP_vector_typeIcLj1EELj1ELj16EEvPT_S3_.has_dyn_sized_stack, 0
	.set _Z18vector_test_kernelI15HIP_vector_typeIcLj1EELj1ELj16EEvPT_S3_.has_recursion, 0
	.set _Z18vector_test_kernelI15HIP_vector_typeIcLj1EELj1ELj16EEvPT_S3_.has_indirect_call, 0
	.section	.AMDGPU.csdata,"",@progbits
; Kernel info:
; codeLenInByte = 36
; TotalNumSgprs: 11
; NumVgprs: 2
; ScratchSize: 0
; MemoryBound: 0
; FloatMode: 240
; IeeeMode: 1
; LDSByteSize: 0 bytes/workgroup (compile time only)
; SGPRBlocks: 1
; VGPRBlocks: 0
; NumSGPRsForWavesPerEU: 11
; NumVGPRsForWavesPerEU: 2
; Occupancy: 10
; WaveLimiterHint : 0
; COMPUTE_PGM_RSRC2:SCRATCH_EN: 0
; COMPUTE_PGM_RSRC2:USER_SGPR: 6
; COMPUTE_PGM_RSRC2:TRAP_HANDLER: 0
; COMPUTE_PGM_RSRC2:TGID_X_EN: 1
; COMPUTE_PGM_RSRC2:TGID_Y_EN: 0
; COMPUTE_PGM_RSRC2:TGID_Z_EN: 0
; COMPUTE_PGM_RSRC2:TIDIG_COMP_CNT: 0
	.section	.text._Z18vector_test_kernelI15HIP_vector_typeIhLj2EELj2ELj16EEvPT_S3_,"axG",@progbits,_Z18vector_test_kernelI15HIP_vector_typeIhLj2EELj2ELj16EEvPT_S3_,comdat
	.protected	_Z18vector_test_kernelI15HIP_vector_typeIhLj2EELj2ELj16EEvPT_S3_ ; -- Begin function _Z18vector_test_kernelI15HIP_vector_typeIhLj2EELj2ELj16EEvPT_S3_
	.globl	_Z18vector_test_kernelI15HIP_vector_typeIhLj2EELj2ELj16EEvPT_S3_
	.p2align	8
	.type	_Z18vector_test_kernelI15HIP_vector_typeIhLj2EELj2ELj16EEvPT_S3_,@function
_Z18vector_test_kernelI15HIP_vector_typeIhLj2EELj2ELj16EEvPT_S3_: ; @_Z18vector_test_kernelI15HIP_vector_typeIhLj2EELj2ELj16EEvPT_S3_
; %bb.0:
	s_load_dwordx2 s[0:1], s[4:5], 0x8
	v_lshl_add_u32 v0, s6, 4, v0
	v_mov_b32_e32 v1, 0
	v_lshlrev_b64 v[2:3], 1, v[0:1]
	s_waitcnt lgkmcnt(0)
	v_mov_b32_e32 v0, s1
	v_add_co_u32_e32 v2, vcc, s0, v2
	v_addc_co_u32_e32 v3, vcc, v0, v3, vcc
	global_store_short v[2:3], v1, off
	s_endpgm
	.section	.rodata,"a",@progbits
	.p2align	6, 0x0
	.amdhsa_kernel _Z18vector_test_kernelI15HIP_vector_typeIhLj2EELj2ELj16EEvPT_S3_
		.amdhsa_group_segment_fixed_size 0
		.amdhsa_private_segment_fixed_size 0
		.amdhsa_kernarg_size 16
		.amdhsa_user_sgpr_count 6
		.amdhsa_user_sgpr_private_segment_buffer 1
		.amdhsa_user_sgpr_dispatch_ptr 0
		.amdhsa_user_sgpr_queue_ptr 0
		.amdhsa_user_sgpr_kernarg_segment_ptr 1
		.amdhsa_user_sgpr_dispatch_id 0
		.amdhsa_user_sgpr_flat_scratch_init 0
		.amdhsa_user_sgpr_private_segment_size 0
		.amdhsa_uses_dynamic_stack 0
		.amdhsa_system_sgpr_private_segment_wavefront_offset 0
		.amdhsa_system_sgpr_workgroup_id_x 1
		.amdhsa_system_sgpr_workgroup_id_y 0
		.amdhsa_system_sgpr_workgroup_id_z 0
		.amdhsa_system_sgpr_workgroup_info 0
		.amdhsa_system_vgpr_workitem_id 0
		.amdhsa_next_free_vgpr 4
		.amdhsa_next_free_sgpr 7
		.amdhsa_reserve_vcc 1
		.amdhsa_reserve_flat_scratch 0
		.amdhsa_float_round_mode_32 0
		.amdhsa_float_round_mode_16_64 0
		.amdhsa_float_denorm_mode_32 3
		.amdhsa_float_denorm_mode_16_64 3
		.amdhsa_dx10_clamp 1
		.amdhsa_ieee_mode 1
		.amdhsa_fp16_overflow 0
		.amdhsa_exception_fp_ieee_invalid_op 0
		.amdhsa_exception_fp_denorm_src 0
		.amdhsa_exception_fp_ieee_div_zero 0
		.amdhsa_exception_fp_ieee_overflow 0
		.amdhsa_exception_fp_ieee_underflow 0
		.amdhsa_exception_fp_ieee_inexact 0
		.amdhsa_exception_int_div_zero 0
	.end_amdhsa_kernel
	.section	.text._Z18vector_test_kernelI15HIP_vector_typeIhLj2EELj2ELj16EEvPT_S3_,"axG",@progbits,_Z18vector_test_kernelI15HIP_vector_typeIhLj2EELj2ELj16EEvPT_S3_,comdat
.Lfunc_end12:
	.size	_Z18vector_test_kernelI15HIP_vector_typeIhLj2EELj2ELj16EEvPT_S3_, .Lfunc_end12-_Z18vector_test_kernelI15HIP_vector_typeIhLj2EELj2ELj16EEvPT_S3_
                                        ; -- End function
	.set _Z18vector_test_kernelI15HIP_vector_typeIhLj2EELj2ELj16EEvPT_S3_.num_vgpr, 4
	.set _Z18vector_test_kernelI15HIP_vector_typeIhLj2EELj2ELj16EEvPT_S3_.num_agpr, 0
	.set _Z18vector_test_kernelI15HIP_vector_typeIhLj2EELj2ELj16EEvPT_S3_.numbered_sgpr, 7
	.set _Z18vector_test_kernelI15HIP_vector_typeIhLj2EELj2ELj16EEvPT_S3_.num_named_barrier, 0
	.set _Z18vector_test_kernelI15HIP_vector_typeIhLj2EELj2ELj16EEvPT_S3_.private_seg_size, 0
	.set _Z18vector_test_kernelI15HIP_vector_typeIhLj2EELj2ELj16EEvPT_S3_.uses_vcc, 1
	.set _Z18vector_test_kernelI15HIP_vector_typeIhLj2EELj2ELj16EEvPT_S3_.uses_flat_scratch, 0
	.set _Z18vector_test_kernelI15HIP_vector_typeIhLj2EELj2ELj16EEvPT_S3_.has_dyn_sized_stack, 0
	.set _Z18vector_test_kernelI15HIP_vector_typeIhLj2EELj2ELj16EEvPT_S3_.has_recursion, 0
	.set _Z18vector_test_kernelI15HIP_vector_typeIhLj2EELj2ELj16EEvPT_S3_.has_indirect_call, 0
	.section	.AMDGPU.csdata,"",@progbits
; Kernel info:
; codeLenInByte = 56
; TotalNumSgprs: 11
; NumVgprs: 4
; ScratchSize: 0
; MemoryBound: 0
; FloatMode: 240
; IeeeMode: 1
; LDSByteSize: 0 bytes/workgroup (compile time only)
; SGPRBlocks: 1
; VGPRBlocks: 0
; NumSGPRsForWavesPerEU: 11
; NumVGPRsForWavesPerEU: 4
; Occupancy: 10
; WaveLimiterHint : 0
; COMPUTE_PGM_RSRC2:SCRATCH_EN: 0
; COMPUTE_PGM_RSRC2:USER_SGPR: 6
; COMPUTE_PGM_RSRC2:TRAP_HANDLER: 0
; COMPUTE_PGM_RSRC2:TGID_X_EN: 1
; COMPUTE_PGM_RSRC2:TGID_Y_EN: 0
; COMPUTE_PGM_RSRC2:TGID_Z_EN: 0
; COMPUTE_PGM_RSRC2:TIDIG_COMP_CNT: 0
	.section	.text._Z18vector_test_kernelI15HIP_vector_typeIdLj2EELj2ELj16EEvPT_S3_,"axG",@progbits,_Z18vector_test_kernelI15HIP_vector_typeIdLj2EELj2ELj16EEvPT_S3_,comdat
	.protected	_Z18vector_test_kernelI15HIP_vector_typeIdLj2EELj2ELj16EEvPT_S3_ ; -- Begin function _Z18vector_test_kernelI15HIP_vector_typeIdLj2EELj2ELj16EEvPT_S3_
	.globl	_Z18vector_test_kernelI15HIP_vector_typeIdLj2EELj2ELj16EEvPT_S3_
	.p2align	8
	.type	_Z18vector_test_kernelI15HIP_vector_typeIdLj2EELj2ELj16EEvPT_S3_,@function
_Z18vector_test_kernelI15HIP_vector_typeIdLj2EELj2ELj16EEvPT_S3_: ; @_Z18vector_test_kernelI15HIP_vector_typeIdLj2EELj2ELj16EEvPT_S3_
; %bb.0:
	s_load_dwordx4 s[0:3], s[4:5], 0x0
	v_lshl_add_u32 v0, s6, 4, v0
	v_mov_b32_e32 v1, 0
	v_lshlrev_b64 v[4:5], 4, v[0:1]
	s_waitcnt lgkmcnt(0)
	v_mov_b32_e32 v1, s1
	v_add_co_u32_e32 v0, vcc, s0, v4
	v_addc_co_u32_e32 v1, vcc, v1, v5, vcc
	global_load_dwordx4 v[0:3], v[0:1], off
	v_mov_b32_e32 v6, s3
	v_add_co_u32_e32 v4, vcc, s2, v4
	v_addc_co_u32_e32 v5, vcc, v6, v5, vcc
	s_waitcnt vmcnt(0)
	v_add_f64 v[2:3], v[2:3], -v[2:3]
	v_add_f64 v[0:1], v[0:1], -v[0:1]
	global_store_dwordx4 v[4:5], v[0:3], off
	s_endpgm
	.section	.rodata,"a",@progbits
	.p2align	6, 0x0
	.amdhsa_kernel _Z18vector_test_kernelI15HIP_vector_typeIdLj2EELj2ELj16EEvPT_S3_
		.amdhsa_group_segment_fixed_size 0
		.amdhsa_private_segment_fixed_size 0
		.amdhsa_kernarg_size 16
		.amdhsa_user_sgpr_count 6
		.amdhsa_user_sgpr_private_segment_buffer 1
		.amdhsa_user_sgpr_dispatch_ptr 0
		.amdhsa_user_sgpr_queue_ptr 0
		.amdhsa_user_sgpr_kernarg_segment_ptr 1
		.amdhsa_user_sgpr_dispatch_id 0
		.amdhsa_user_sgpr_flat_scratch_init 0
		.amdhsa_user_sgpr_private_segment_size 0
		.amdhsa_uses_dynamic_stack 0
		.amdhsa_system_sgpr_private_segment_wavefront_offset 0
		.amdhsa_system_sgpr_workgroup_id_x 1
		.amdhsa_system_sgpr_workgroup_id_y 0
		.amdhsa_system_sgpr_workgroup_id_z 0
		.amdhsa_system_sgpr_workgroup_info 0
		.amdhsa_system_vgpr_workitem_id 0
		.amdhsa_next_free_vgpr 7
		.amdhsa_next_free_sgpr 7
		.amdhsa_reserve_vcc 1
		.amdhsa_reserve_flat_scratch 0
		.amdhsa_float_round_mode_32 0
		.amdhsa_float_round_mode_16_64 0
		.amdhsa_float_denorm_mode_32 3
		.amdhsa_float_denorm_mode_16_64 3
		.amdhsa_dx10_clamp 1
		.amdhsa_ieee_mode 1
		.amdhsa_fp16_overflow 0
		.amdhsa_exception_fp_ieee_invalid_op 0
		.amdhsa_exception_fp_denorm_src 0
		.amdhsa_exception_fp_ieee_div_zero 0
		.amdhsa_exception_fp_ieee_overflow 0
		.amdhsa_exception_fp_ieee_underflow 0
		.amdhsa_exception_fp_ieee_inexact 0
		.amdhsa_exception_int_div_zero 0
	.end_amdhsa_kernel
	.section	.text._Z18vector_test_kernelI15HIP_vector_typeIdLj2EELj2ELj16EEvPT_S3_,"axG",@progbits,_Z18vector_test_kernelI15HIP_vector_typeIdLj2EELj2ELj16EEvPT_S3_,comdat
.Lfunc_end13:
	.size	_Z18vector_test_kernelI15HIP_vector_typeIdLj2EELj2ELj16EEvPT_S3_, .Lfunc_end13-_Z18vector_test_kernelI15HIP_vector_typeIdLj2EELj2ELj16EEvPT_S3_
                                        ; -- End function
	.set _Z18vector_test_kernelI15HIP_vector_typeIdLj2EELj2ELj16EEvPT_S3_.num_vgpr, 7
	.set _Z18vector_test_kernelI15HIP_vector_typeIdLj2EELj2ELj16EEvPT_S3_.num_agpr, 0
	.set _Z18vector_test_kernelI15HIP_vector_typeIdLj2EELj2ELj16EEvPT_S3_.numbered_sgpr, 7
	.set _Z18vector_test_kernelI15HIP_vector_typeIdLj2EELj2ELj16EEvPT_S3_.num_named_barrier, 0
	.set _Z18vector_test_kernelI15HIP_vector_typeIdLj2EELj2ELj16EEvPT_S3_.private_seg_size, 0
	.set _Z18vector_test_kernelI15HIP_vector_typeIdLj2EELj2ELj16EEvPT_S3_.uses_vcc, 1
	.set _Z18vector_test_kernelI15HIP_vector_typeIdLj2EELj2ELj16EEvPT_S3_.uses_flat_scratch, 0
	.set _Z18vector_test_kernelI15HIP_vector_typeIdLj2EELj2ELj16EEvPT_S3_.has_dyn_sized_stack, 0
	.set _Z18vector_test_kernelI15HIP_vector_typeIdLj2EELj2ELj16EEvPT_S3_.has_recursion, 0
	.set _Z18vector_test_kernelI15HIP_vector_typeIdLj2EELj2ELj16EEvPT_S3_.has_indirect_call, 0
	.section	.AMDGPU.csdata,"",@progbits
; Kernel info:
; codeLenInByte = 96
; TotalNumSgprs: 11
; NumVgprs: 7
; ScratchSize: 0
; MemoryBound: 0
; FloatMode: 240
; IeeeMode: 1
; LDSByteSize: 0 bytes/workgroup (compile time only)
; SGPRBlocks: 1
; VGPRBlocks: 1
; NumSGPRsForWavesPerEU: 11
; NumVGPRsForWavesPerEU: 7
; Occupancy: 10
; WaveLimiterHint : 0
; COMPUTE_PGM_RSRC2:SCRATCH_EN: 0
; COMPUTE_PGM_RSRC2:USER_SGPR: 6
; COMPUTE_PGM_RSRC2:TRAP_HANDLER: 0
; COMPUTE_PGM_RSRC2:TGID_X_EN: 1
; COMPUTE_PGM_RSRC2:TGID_Y_EN: 0
; COMPUTE_PGM_RSRC2:TGID_Z_EN: 0
; COMPUTE_PGM_RSRC2:TIDIG_COMP_CNT: 0
	.section	.text._Z18vector_test_kernelI15HIP_vector_typeIfLj2EELj2ELj16EEvPT_S3_,"axG",@progbits,_Z18vector_test_kernelI15HIP_vector_typeIfLj2EELj2ELj16EEvPT_S3_,comdat
	.protected	_Z18vector_test_kernelI15HIP_vector_typeIfLj2EELj2ELj16EEvPT_S3_ ; -- Begin function _Z18vector_test_kernelI15HIP_vector_typeIfLj2EELj2ELj16EEvPT_S3_
	.globl	_Z18vector_test_kernelI15HIP_vector_typeIfLj2EELj2ELj16EEvPT_S3_
	.p2align	8
	.type	_Z18vector_test_kernelI15HIP_vector_typeIfLj2EELj2ELj16EEvPT_S3_,@function
_Z18vector_test_kernelI15HIP_vector_typeIfLj2EELj2ELj16EEvPT_S3_: ; @_Z18vector_test_kernelI15HIP_vector_typeIfLj2EELj2ELj16EEvPT_S3_
; %bb.0:
	s_load_dwordx4 s[0:3], s[4:5], 0x0
	v_lshl_add_u32 v0, s6, 4, v0
	v_mov_b32_e32 v1, 0
	v_lshlrev_b64 v[0:1], 3, v[0:1]
	s_waitcnt lgkmcnt(0)
	v_mov_b32_e32 v3, s1
	v_add_co_u32_e32 v2, vcc, s0, v0
	v_addc_co_u32_e32 v3, vcc, v3, v1, vcc
	global_load_dwordx2 v[2:3], v[2:3], off
	v_mov_b32_e32 v4, s3
	v_add_co_u32_e32 v0, vcc, s2, v0
	v_addc_co_u32_e32 v1, vcc, v4, v1, vcc
	s_waitcnt vmcnt(0)
	v_sub_f32_e32 v3, v3, v3
	v_sub_f32_e32 v2, v2, v2
	global_store_dwordx2 v[0:1], v[2:3], off
	s_endpgm
	.section	.rodata,"a",@progbits
	.p2align	6, 0x0
	.amdhsa_kernel _Z18vector_test_kernelI15HIP_vector_typeIfLj2EELj2ELj16EEvPT_S3_
		.amdhsa_group_segment_fixed_size 0
		.amdhsa_private_segment_fixed_size 0
		.amdhsa_kernarg_size 16
		.amdhsa_user_sgpr_count 6
		.amdhsa_user_sgpr_private_segment_buffer 1
		.amdhsa_user_sgpr_dispatch_ptr 0
		.amdhsa_user_sgpr_queue_ptr 0
		.amdhsa_user_sgpr_kernarg_segment_ptr 1
		.amdhsa_user_sgpr_dispatch_id 0
		.amdhsa_user_sgpr_flat_scratch_init 0
		.amdhsa_user_sgpr_private_segment_size 0
		.amdhsa_uses_dynamic_stack 0
		.amdhsa_system_sgpr_private_segment_wavefront_offset 0
		.amdhsa_system_sgpr_workgroup_id_x 1
		.amdhsa_system_sgpr_workgroup_id_y 0
		.amdhsa_system_sgpr_workgroup_id_z 0
		.amdhsa_system_sgpr_workgroup_info 0
		.amdhsa_system_vgpr_workitem_id 0
		.amdhsa_next_free_vgpr 5
		.amdhsa_next_free_sgpr 7
		.amdhsa_reserve_vcc 1
		.amdhsa_reserve_flat_scratch 0
		.amdhsa_float_round_mode_32 0
		.amdhsa_float_round_mode_16_64 0
		.amdhsa_float_denorm_mode_32 3
		.amdhsa_float_denorm_mode_16_64 3
		.amdhsa_dx10_clamp 1
		.amdhsa_ieee_mode 1
		.amdhsa_fp16_overflow 0
		.amdhsa_exception_fp_ieee_invalid_op 0
		.amdhsa_exception_fp_denorm_src 0
		.amdhsa_exception_fp_ieee_div_zero 0
		.amdhsa_exception_fp_ieee_overflow 0
		.amdhsa_exception_fp_ieee_underflow 0
		.amdhsa_exception_fp_ieee_inexact 0
		.amdhsa_exception_int_div_zero 0
	.end_amdhsa_kernel
	.section	.text._Z18vector_test_kernelI15HIP_vector_typeIfLj2EELj2ELj16EEvPT_S3_,"axG",@progbits,_Z18vector_test_kernelI15HIP_vector_typeIfLj2EELj2ELj16EEvPT_S3_,comdat
.Lfunc_end14:
	.size	_Z18vector_test_kernelI15HIP_vector_typeIfLj2EELj2ELj16EEvPT_S3_, .Lfunc_end14-_Z18vector_test_kernelI15HIP_vector_typeIfLj2EELj2ELj16EEvPT_S3_
                                        ; -- End function
	.set _Z18vector_test_kernelI15HIP_vector_typeIfLj2EELj2ELj16EEvPT_S3_.num_vgpr, 5
	.set _Z18vector_test_kernelI15HIP_vector_typeIfLj2EELj2ELj16EEvPT_S3_.num_agpr, 0
	.set _Z18vector_test_kernelI15HIP_vector_typeIfLj2EELj2ELj16EEvPT_S3_.numbered_sgpr, 7
	.set _Z18vector_test_kernelI15HIP_vector_typeIfLj2EELj2ELj16EEvPT_S3_.num_named_barrier, 0
	.set _Z18vector_test_kernelI15HIP_vector_typeIfLj2EELj2ELj16EEvPT_S3_.private_seg_size, 0
	.set _Z18vector_test_kernelI15HIP_vector_typeIfLj2EELj2ELj16EEvPT_S3_.uses_vcc, 1
	.set _Z18vector_test_kernelI15HIP_vector_typeIfLj2EELj2ELj16EEvPT_S3_.uses_flat_scratch, 0
	.set _Z18vector_test_kernelI15HIP_vector_typeIfLj2EELj2ELj16EEvPT_S3_.has_dyn_sized_stack, 0
	.set _Z18vector_test_kernelI15HIP_vector_typeIfLj2EELj2ELj16EEvPT_S3_.has_recursion, 0
	.set _Z18vector_test_kernelI15HIP_vector_typeIfLj2EELj2ELj16EEvPT_S3_.has_indirect_call, 0
	.section	.AMDGPU.csdata,"",@progbits
; Kernel info:
; codeLenInByte = 88
; TotalNumSgprs: 11
; NumVgprs: 5
; ScratchSize: 0
; MemoryBound: 0
; FloatMode: 240
; IeeeMode: 1
; LDSByteSize: 0 bytes/workgroup (compile time only)
; SGPRBlocks: 1
; VGPRBlocks: 1
; NumSGPRsForWavesPerEU: 11
; NumVGPRsForWavesPerEU: 5
; Occupancy: 10
; WaveLimiterHint : 0
; COMPUTE_PGM_RSRC2:SCRATCH_EN: 0
; COMPUTE_PGM_RSRC2:USER_SGPR: 6
; COMPUTE_PGM_RSRC2:TRAP_HANDLER: 0
; COMPUTE_PGM_RSRC2:TGID_X_EN: 1
; COMPUTE_PGM_RSRC2:TGID_Y_EN: 0
; COMPUTE_PGM_RSRC2:TGID_Z_EN: 0
; COMPUTE_PGM_RSRC2:TIDIG_COMP_CNT: 0
	.section	.text._Z18vector_test_kernelI15HIP_vector_typeIyLj2EELj2ELj16EEvPT_S3_,"axG",@progbits,_Z18vector_test_kernelI15HIP_vector_typeIyLj2EELj2ELj16EEvPT_S3_,comdat
	.protected	_Z18vector_test_kernelI15HIP_vector_typeIyLj2EELj2ELj16EEvPT_S3_ ; -- Begin function _Z18vector_test_kernelI15HIP_vector_typeIyLj2EELj2ELj16EEvPT_S3_
	.globl	_Z18vector_test_kernelI15HIP_vector_typeIyLj2EELj2ELj16EEvPT_S3_
	.p2align	8
	.type	_Z18vector_test_kernelI15HIP_vector_typeIyLj2EELj2ELj16EEvPT_S3_,@function
_Z18vector_test_kernelI15HIP_vector_typeIyLj2EELj2ELj16EEvPT_S3_: ; @_Z18vector_test_kernelI15HIP_vector_typeIyLj2EELj2ELj16EEvPT_S3_
; %bb.0:
	s_load_dwordx2 s[0:1], s[4:5], 0x8
	v_lshl_add_u32 v0, s6, 4, v0
	v_mov_b32_e32 v1, 0
	v_lshlrev_b64 v[2:3], 4, v[0:1]
	s_waitcnt lgkmcnt(0)
	v_mov_b32_e32 v0, s1
	v_add_co_u32_e32 v4, vcc, s0, v2
	v_addc_co_u32_e32 v5, vcc, v0, v3, vcc
	v_mov_b32_e32 v0, v1
	v_mov_b32_e32 v2, v1
	v_mov_b32_e32 v3, v1
	global_store_dwordx4 v[4:5], v[0:3], off
	s_endpgm
	.section	.rodata,"a",@progbits
	.p2align	6, 0x0
	.amdhsa_kernel _Z18vector_test_kernelI15HIP_vector_typeIyLj2EELj2ELj16EEvPT_S3_
		.amdhsa_group_segment_fixed_size 0
		.amdhsa_private_segment_fixed_size 0
		.amdhsa_kernarg_size 16
		.amdhsa_user_sgpr_count 6
		.amdhsa_user_sgpr_private_segment_buffer 1
		.amdhsa_user_sgpr_dispatch_ptr 0
		.amdhsa_user_sgpr_queue_ptr 0
		.amdhsa_user_sgpr_kernarg_segment_ptr 1
		.amdhsa_user_sgpr_dispatch_id 0
		.amdhsa_user_sgpr_flat_scratch_init 0
		.amdhsa_user_sgpr_private_segment_size 0
		.amdhsa_uses_dynamic_stack 0
		.amdhsa_system_sgpr_private_segment_wavefront_offset 0
		.amdhsa_system_sgpr_workgroup_id_x 1
		.amdhsa_system_sgpr_workgroup_id_y 0
		.amdhsa_system_sgpr_workgroup_id_z 0
		.amdhsa_system_sgpr_workgroup_info 0
		.amdhsa_system_vgpr_workitem_id 0
		.amdhsa_next_free_vgpr 6
		.amdhsa_next_free_sgpr 7
		.amdhsa_reserve_vcc 1
		.amdhsa_reserve_flat_scratch 0
		.amdhsa_float_round_mode_32 0
		.amdhsa_float_round_mode_16_64 0
		.amdhsa_float_denorm_mode_32 3
		.amdhsa_float_denorm_mode_16_64 3
		.amdhsa_dx10_clamp 1
		.amdhsa_ieee_mode 1
		.amdhsa_fp16_overflow 0
		.amdhsa_exception_fp_ieee_invalid_op 0
		.amdhsa_exception_fp_denorm_src 0
		.amdhsa_exception_fp_ieee_div_zero 0
		.amdhsa_exception_fp_ieee_overflow 0
		.amdhsa_exception_fp_ieee_underflow 0
		.amdhsa_exception_fp_ieee_inexact 0
		.amdhsa_exception_int_div_zero 0
	.end_amdhsa_kernel
	.section	.text._Z18vector_test_kernelI15HIP_vector_typeIyLj2EELj2ELj16EEvPT_S3_,"axG",@progbits,_Z18vector_test_kernelI15HIP_vector_typeIyLj2EELj2ELj16EEvPT_S3_,comdat
.Lfunc_end15:
	.size	_Z18vector_test_kernelI15HIP_vector_typeIyLj2EELj2ELj16EEvPT_S3_, .Lfunc_end15-_Z18vector_test_kernelI15HIP_vector_typeIyLj2EELj2ELj16EEvPT_S3_
                                        ; -- End function
	.set _Z18vector_test_kernelI15HIP_vector_typeIyLj2EELj2ELj16EEvPT_S3_.num_vgpr, 6
	.set _Z18vector_test_kernelI15HIP_vector_typeIyLj2EELj2ELj16EEvPT_S3_.num_agpr, 0
	.set _Z18vector_test_kernelI15HIP_vector_typeIyLj2EELj2ELj16EEvPT_S3_.numbered_sgpr, 7
	.set _Z18vector_test_kernelI15HIP_vector_typeIyLj2EELj2ELj16EEvPT_S3_.num_named_barrier, 0
	.set _Z18vector_test_kernelI15HIP_vector_typeIyLj2EELj2ELj16EEvPT_S3_.private_seg_size, 0
	.set _Z18vector_test_kernelI15HIP_vector_typeIyLj2EELj2ELj16EEvPT_S3_.uses_vcc, 1
	.set _Z18vector_test_kernelI15HIP_vector_typeIyLj2EELj2ELj16EEvPT_S3_.uses_flat_scratch, 0
	.set _Z18vector_test_kernelI15HIP_vector_typeIyLj2EELj2ELj16EEvPT_S3_.has_dyn_sized_stack, 0
	.set _Z18vector_test_kernelI15HIP_vector_typeIyLj2EELj2ELj16EEvPT_S3_.has_recursion, 0
	.set _Z18vector_test_kernelI15HIP_vector_typeIyLj2EELj2ELj16EEvPT_S3_.has_indirect_call, 0
	.section	.AMDGPU.csdata,"",@progbits
; Kernel info:
; codeLenInByte = 68
; TotalNumSgprs: 11
; NumVgprs: 6
; ScratchSize: 0
; MemoryBound: 0
; FloatMode: 240
; IeeeMode: 1
; LDSByteSize: 0 bytes/workgroup (compile time only)
; SGPRBlocks: 1
; VGPRBlocks: 1
; NumSGPRsForWavesPerEU: 11
; NumVGPRsForWavesPerEU: 6
; Occupancy: 10
; WaveLimiterHint : 0
; COMPUTE_PGM_RSRC2:SCRATCH_EN: 0
; COMPUTE_PGM_RSRC2:USER_SGPR: 6
; COMPUTE_PGM_RSRC2:TRAP_HANDLER: 0
; COMPUTE_PGM_RSRC2:TGID_X_EN: 1
; COMPUTE_PGM_RSRC2:TGID_Y_EN: 0
; COMPUTE_PGM_RSRC2:TGID_Z_EN: 0
; COMPUTE_PGM_RSRC2:TIDIG_COMP_CNT: 0
	.section	.text._Z18vector_test_kernelI15HIP_vector_typeIxLj2EELj2ELj16EEvPT_S3_,"axG",@progbits,_Z18vector_test_kernelI15HIP_vector_typeIxLj2EELj2ELj16EEvPT_S3_,comdat
	.protected	_Z18vector_test_kernelI15HIP_vector_typeIxLj2EELj2ELj16EEvPT_S3_ ; -- Begin function _Z18vector_test_kernelI15HIP_vector_typeIxLj2EELj2ELj16EEvPT_S3_
	.globl	_Z18vector_test_kernelI15HIP_vector_typeIxLj2EELj2ELj16EEvPT_S3_
	.p2align	8
	.type	_Z18vector_test_kernelI15HIP_vector_typeIxLj2EELj2ELj16EEvPT_S3_,@function
_Z18vector_test_kernelI15HIP_vector_typeIxLj2EELj2ELj16EEvPT_S3_: ; @_Z18vector_test_kernelI15HIP_vector_typeIxLj2EELj2ELj16EEvPT_S3_
; %bb.0:
	s_load_dwordx2 s[0:1], s[4:5], 0x8
	v_lshl_add_u32 v0, s6, 4, v0
	v_mov_b32_e32 v1, 0
	v_lshlrev_b64 v[2:3], 4, v[0:1]
	s_waitcnt lgkmcnt(0)
	v_mov_b32_e32 v0, s1
	v_add_co_u32_e32 v4, vcc, s0, v2
	v_addc_co_u32_e32 v5, vcc, v0, v3, vcc
	v_mov_b32_e32 v0, v1
	v_mov_b32_e32 v2, v1
	;; [unrolled: 1-line block ×3, first 2 shown]
	global_store_dwordx4 v[4:5], v[0:3], off
	s_endpgm
	.section	.rodata,"a",@progbits
	.p2align	6, 0x0
	.amdhsa_kernel _Z18vector_test_kernelI15HIP_vector_typeIxLj2EELj2ELj16EEvPT_S3_
		.amdhsa_group_segment_fixed_size 0
		.amdhsa_private_segment_fixed_size 0
		.amdhsa_kernarg_size 16
		.amdhsa_user_sgpr_count 6
		.amdhsa_user_sgpr_private_segment_buffer 1
		.amdhsa_user_sgpr_dispatch_ptr 0
		.amdhsa_user_sgpr_queue_ptr 0
		.amdhsa_user_sgpr_kernarg_segment_ptr 1
		.amdhsa_user_sgpr_dispatch_id 0
		.amdhsa_user_sgpr_flat_scratch_init 0
		.amdhsa_user_sgpr_private_segment_size 0
		.amdhsa_uses_dynamic_stack 0
		.amdhsa_system_sgpr_private_segment_wavefront_offset 0
		.amdhsa_system_sgpr_workgroup_id_x 1
		.amdhsa_system_sgpr_workgroup_id_y 0
		.amdhsa_system_sgpr_workgroup_id_z 0
		.amdhsa_system_sgpr_workgroup_info 0
		.amdhsa_system_vgpr_workitem_id 0
		.amdhsa_next_free_vgpr 6
		.amdhsa_next_free_sgpr 7
		.amdhsa_reserve_vcc 1
		.amdhsa_reserve_flat_scratch 0
		.amdhsa_float_round_mode_32 0
		.amdhsa_float_round_mode_16_64 0
		.amdhsa_float_denorm_mode_32 3
		.amdhsa_float_denorm_mode_16_64 3
		.amdhsa_dx10_clamp 1
		.amdhsa_ieee_mode 1
		.amdhsa_fp16_overflow 0
		.amdhsa_exception_fp_ieee_invalid_op 0
		.amdhsa_exception_fp_denorm_src 0
		.amdhsa_exception_fp_ieee_div_zero 0
		.amdhsa_exception_fp_ieee_overflow 0
		.amdhsa_exception_fp_ieee_underflow 0
		.amdhsa_exception_fp_ieee_inexact 0
		.amdhsa_exception_int_div_zero 0
	.end_amdhsa_kernel
	.section	.text._Z18vector_test_kernelI15HIP_vector_typeIxLj2EELj2ELj16EEvPT_S3_,"axG",@progbits,_Z18vector_test_kernelI15HIP_vector_typeIxLj2EELj2ELj16EEvPT_S3_,comdat
.Lfunc_end16:
	.size	_Z18vector_test_kernelI15HIP_vector_typeIxLj2EELj2ELj16EEvPT_S3_, .Lfunc_end16-_Z18vector_test_kernelI15HIP_vector_typeIxLj2EELj2ELj16EEvPT_S3_
                                        ; -- End function
	.set _Z18vector_test_kernelI15HIP_vector_typeIxLj2EELj2ELj16EEvPT_S3_.num_vgpr, 6
	.set _Z18vector_test_kernelI15HIP_vector_typeIxLj2EELj2ELj16EEvPT_S3_.num_agpr, 0
	.set _Z18vector_test_kernelI15HIP_vector_typeIxLj2EELj2ELj16EEvPT_S3_.numbered_sgpr, 7
	.set _Z18vector_test_kernelI15HIP_vector_typeIxLj2EELj2ELj16EEvPT_S3_.num_named_barrier, 0
	.set _Z18vector_test_kernelI15HIP_vector_typeIxLj2EELj2ELj16EEvPT_S3_.private_seg_size, 0
	.set _Z18vector_test_kernelI15HIP_vector_typeIxLj2EELj2ELj16EEvPT_S3_.uses_vcc, 1
	.set _Z18vector_test_kernelI15HIP_vector_typeIxLj2EELj2ELj16EEvPT_S3_.uses_flat_scratch, 0
	.set _Z18vector_test_kernelI15HIP_vector_typeIxLj2EELj2ELj16EEvPT_S3_.has_dyn_sized_stack, 0
	.set _Z18vector_test_kernelI15HIP_vector_typeIxLj2EELj2ELj16EEvPT_S3_.has_recursion, 0
	.set _Z18vector_test_kernelI15HIP_vector_typeIxLj2EELj2ELj16EEvPT_S3_.has_indirect_call, 0
	.section	.AMDGPU.csdata,"",@progbits
; Kernel info:
; codeLenInByte = 68
; TotalNumSgprs: 11
; NumVgprs: 6
; ScratchSize: 0
; MemoryBound: 0
; FloatMode: 240
; IeeeMode: 1
; LDSByteSize: 0 bytes/workgroup (compile time only)
; SGPRBlocks: 1
; VGPRBlocks: 1
; NumSGPRsForWavesPerEU: 11
; NumVGPRsForWavesPerEU: 6
; Occupancy: 10
; WaveLimiterHint : 0
; COMPUTE_PGM_RSRC2:SCRATCH_EN: 0
; COMPUTE_PGM_RSRC2:USER_SGPR: 6
; COMPUTE_PGM_RSRC2:TRAP_HANDLER: 0
; COMPUTE_PGM_RSRC2:TGID_X_EN: 1
; COMPUTE_PGM_RSRC2:TGID_Y_EN: 0
; COMPUTE_PGM_RSRC2:TGID_Z_EN: 0
; COMPUTE_PGM_RSRC2:TIDIG_COMP_CNT: 0
	.section	.text._Z18vector_test_kernelI15HIP_vector_typeImLj2EELj2ELj16EEvPT_S3_,"axG",@progbits,_Z18vector_test_kernelI15HIP_vector_typeImLj2EELj2ELj16EEvPT_S3_,comdat
	.protected	_Z18vector_test_kernelI15HIP_vector_typeImLj2EELj2ELj16EEvPT_S3_ ; -- Begin function _Z18vector_test_kernelI15HIP_vector_typeImLj2EELj2ELj16EEvPT_S3_
	.globl	_Z18vector_test_kernelI15HIP_vector_typeImLj2EELj2ELj16EEvPT_S3_
	.p2align	8
	.type	_Z18vector_test_kernelI15HIP_vector_typeImLj2EELj2ELj16EEvPT_S3_,@function
_Z18vector_test_kernelI15HIP_vector_typeImLj2EELj2ELj16EEvPT_S3_: ; @_Z18vector_test_kernelI15HIP_vector_typeImLj2EELj2ELj16EEvPT_S3_
; %bb.0:
	s_load_dwordx2 s[0:1], s[4:5], 0x8
	v_lshl_add_u32 v0, s6, 4, v0
	v_mov_b32_e32 v1, 0
	v_lshlrev_b64 v[2:3], 4, v[0:1]
	s_waitcnt lgkmcnt(0)
	v_mov_b32_e32 v0, s1
	v_add_co_u32_e32 v4, vcc, s0, v2
	v_addc_co_u32_e32 v5, vcc, v0, v3, vcc
	v_mov_b32_e32 v0, v1
	v_mov_b32_e32 v2, v1
	;; [unrolled: 1-line block ×3, first 2 shown]
	global_store_dwordx4 v[4:5], v[0:3], off
	s_endpgm
	.section	.rodata,"a",@progbits
	.p2align	6, 0x0
	.amdhsa_kernel _Z18vector_test_kernelI15HIP_vector_typeImLj2EELj2ELj16EEvPT_S3_
		.amdhsa_group_segment_fixed_size 0
		.amdhsa_private_segment_fixed_size 0
		.amdhsa_kernarg_size 16
		.amdhsa_user_sgpr_count 6
		.amdhsa_user_sgpr_private_segment_buffer 1
		.amdhsa_user_sgpr_dispatch_ptr 0
		.amdhsa_user_sgpr_queue_ptr 0
		.amdhsa_user_sgpr_kernarg_segment_ptr 1
		.amdhsa_user_sgpr_dispatch_id 0
		.amdhsa_user_sgpr_flat_scratch_init 0
		.amdhsa_user_sgpr_private_segment_size 0
		.amdhsa_uses_dynamic_stack 0
		.amdhsa_system_sgpr_private_segment_wavefront_offset 0
		.amdhsa_system_sgpr_workgroup_id_x 1
		.amdhsa_system_sgpr_workgroup_id_y 0
		.amdhsa_system_sgpr_workgroup_id_z 0
		.amdhsa_system_sgpr_workgroup_info 0
		.amdhsa_system_vgpr_workitem_id 0
		.amdhsa_next_free_vgpr 6
		.amdhsa_next_free_sgpr 7
		.amdhsa_reserve_vcc 1
		.amdhsa_reserve_flat_scratch 0
		.amdhsa_float_round_mode_32 0
		.amdhsa_float_round_mode_16_64 0
		.amdhsa_float_denorm_mode_32 3
		.amdhsa_float_denorm_mode_16_64 3
		.amdhsa_dx10_clamp 1
		.amdhsa_ieee_mode 1
		.amdhsa_fp16_overflow 0
		.amdhsa_exception_fp_ieee_invalid_op 0
		.amdhsa_exception_fp_denorm_src 0
		.amdhsa_exception_fp_ieee_div_zero 0
		.amdhsa_exception_fp_ieee_overflow 0
		.amdhsa_exception_fp_ieee_underflow 0
		.amdhsa_exception_fp_ieee_inexact 0
		.amdhsa_exception_int_div_zero 0
	.end_amdhsa_kernel
	.section	.text._Z18vector_test_kernelI15HIP_vector_typeImLj2EELj2ELj16EEvPT_S3_,"axG",@progbits,_Z18vector_test_kernelI15HIP_vector_typeImLj2EELj2ELj16EEvPT_S3_,comdat
.Lfunc_end17:
	.size	_Z18vector_test_kernelI15HIP_vector_typeImLj2EELj2ELj16EEvPT_S3_, .Lfunc_end17-_Z18vector_test_kernelI15HIP_vector_typeImLj2EELj2ELj16EEvPT_S3_
                                        ; -- End function
	.set _Z18vector_test_kernelI15HIP_vector_typeImLj2EELj2ELj16EEvPT_S3_.num_vgpr, 6
	.set _Z18vector_test_kernelI15HIP_vector_typeImLj2EELj2ELj16EEvPT_S3_.num_agpr, 0
	.set _Z18vector_test_kernelI15HIP_vector_typeImLj2EELj2ELj16EEvPT_S3_.numbered_sgpr, 7
	.set _Z18vector_test_kernelI15HIP_vector_typeImLj2EELj2ELj16EEvPT_S3_.num_named_barrier, 0
	.set _Z18vector_test_kernelI15HIP_vector_typeImLj2EELj2ELj16EEvPT_S3_.private_seg_size, 0
	.set _Z18vector_test_kernelI15HIP_vector_typeImLj2EELj2ELj16EEvPT_S3_.uses_vcc, 1
	.set _Z18vector_test_kernelI15HIP_vector_typeImLj2EELj2ELj16EEvPT_S3_.uses_flat_scratch, 0
	.set _Z18vector_test_kernelI15HIP_vector_typeImLj2EELj2ELj16EEvPT_S3_.has_dyn_sized_stack, 0
	.set _Z18vector_test_kernelI15HIP_vector_typeImLj2EELj2ELj16EEvPT_S3_.has_recursion, 0
	.set _Z18vector_test_kernelI15HIP_vector_typeImLj2EELj2ELj16EEvPT_S3_.has_indirect_call, 0
	.section	.AMDGPU.csdata,"",@progbits
; Kernel info:
; codeLenInByte = 68
; TotalNumSgprs: 11
; NumVgprs: 6
; ScratchSize: 0
; MemoryBound: 0
; FloatMode: 240
; IeeeMode: 1
; LDSByteSize: 0 bytes/workgroup (compile time only)
; SGPRBlocks: 1
; VGPRBlocks: 1
; NumSGPRsForWavesPerEU: 11
; NumVGPRsForWavesPerEU: 6
; Occupancy: 10
; WaveLimiterHint : 0
; COMPUTE_PGM_RSRC2:SCRATCH_EN: 0
; COMPUTE_PGM_RSRC2:USER_SGPR: 6
; COMPUTE_PGM_RSRC2:TRAP_HANDLER: 0
; COMPUTE_PGM_RSRC2:TGID_X_EN: 1
; COMPUTE_PGM_RSRC2:TGID_Y_EN: 0
; COMPUTE_PGM_RSRC2:TGID_Z_EN: 0
; COMPUTE_PGM_RSRC2:TIDIG_COMP_CNT: 0
	.section	.text._Z18vector_test_kernelI15HIP_vector_typeIlLj2EELj2ELj16EEvPT_S3_,"axG",@progbits,_Z18vector_test_kernelI15HIP_vector_typeIlLj2EELj2ELj16EEvPT_S3_,comdat
	.protected	_Z18vector_test_kernelI15HIP_vector_typeIlLj2EELj2ELj16EEvPT_S3_ ; -- Begin function _Z18vector_test_kernelI15HIP_vector_typeIlLj2EELj2ELj16EEvPT_S3_
	.globl	_Z18vector_test_kernelI15HIP_vector_typeIlLj2EELj2ELj16EEvPT_S3_
	.p2align	8
	.type	_Z18vector_test_kernelI15HIP_vector_typeIlLj2EELj2ELj16EEvPT_S3_,@function
_Z18vector_test_kernelI15HIP_vector_typeIlLj2EELj2ELj16EEvPT_S3_: ; @_Z18vector_test_kernelI15HIP_vector_typeIlLj2EELj2ELj16EEvPT_S3_
; %bb.0:
	s_load_dwordx2 s[0:1], s[4:5], 0x8
	v_lshl_add_u32 v0, s6, 4, v0
	v_mov_b32_e32 v1, 0
	v_lshlrev_b64 v[2:3], 4, v[0:1]
	s_waitcnt lgkmcnt(0)
	v_mov_b32_e32 v0, s1
	v_add_co_u32_e32 v4, vcc, s0, v2
	v_addc_co_u32_e32 v5, vcc, v0, v3, vcc
	v_mov_b32_e32 v0, v1
	v_mov_b32_e32 v2, v1
	;; [unrolled: 1-line block ×3, first 2 shown]
	global_store_dwordx4 v[4:5], v[0:3], off
	s_endpgm
	.section	.rodata,"a",@progbits
	.p2align	6, 0x0
	.amdhsa_kernel _Z18vector_test_kernelI15HIP_vector_typeIlLj2EELj2ELj16EEvPT_S3_
		.amdhsa_group_segment_fixed_size 0
		.amdhsa_private_segment_fixed_size 0
		.amdhsa_kernarg_size 16
		.amdhsa_user_sgpr_count 6
		.amdhsa_user_sgpr_private_segment_buffer 1
		.amdhsa_user_sgpr_dispatch_ptr 0
		.amdhsa_user_sgpr_queue_ptr 0
		.amdhsa_user_sgpr_kernarg_segment_ptr 1
		.amdhsa_user_sgpr_dispatch_id 0
		.amdhsa_user_sgpr_flat_scratch_init 0
		.amdhsa_user_sgpr_private_segment_size 0
		.amdhsa_uses_dynamic_stack 0
		.amdhsa_system_sgpr_private_segment_wavefront_offset 0
		.amdhsa_system_sgpr_workgroup_id_x 1
		.amdhsa_system_sgpr_workgroup_id_y 0
		.amdhsa_system_sgpr_workgroup_id_z 0
		.amdhsa_system_sgpr_workgroup_info 0
		.amdhsa_system_vgpr_workitem_id 0
		.amdhsa_next_free_vgpr 6
		.amdhsa_next_free_sgpr 7
		.amdhsa_reserve_vcc 1
		.amdhsa_reserve_flat_scratch 0
		.amdhsa_float_round_mode_32 0
		.amdhsa_float_round_mode_16_64 0
		.amdhsa_float_denorm_mode_32 3
		.amdhsa_float_denorm_mode_16_64 3
		.amdhsa_dx10_clamp 1
		.amdhsa_ieee_mode 1
		.amdhsa_fp16_overflow 0
		.amdhsa_exception_fp_ieee_invalid_op 0
		.amdhsa_exception_fp_denorm_src 0
		.amdhsa_exception_fp_ieee_div_zero 0
		.amdhsa_exception_fp_ieee_overflow 0
		.amdhsa_exception_fp_ieee_underflow 0
		.amdhsa_exception_fp_ieee_inexact 0
		.amdhsa_exception_int_div_zero 0
	.end_amdhsa_kernel
	.section	.text._Z18vector_test_kernelI15HIP_vector_typeIlLj2EELj2ELj16EEvPT_S3_,"axG",@progbits,_Z18vector_test_kernelI15HIP_vector_typeIlLj2EELj2ELj16EEvPT_S3_,comdat
.Lfunc_end18:
	.size	_Z18vector_test_kernelI15HIP_vector_typeIlLj2EELj2ELj16EEvPT_S3_, .Lfunc_end18-_Z18vector_test_kernelI15HIP_vector_typeIlLj2EELj2ELj16EEvPT_S3_
                                        ; -- End function
	.set _Z18vector_test_kernelI15HIP_vector_typeIlLj2EELj2ELj16EEvPT_S3_.num_vgpr, 6
	.set _Z18vector_test_kernelI15HIP_vector_typeIlLj2EELj2ELj16EEvPT_S3_.num_agpr, 0
	.set _Z18vector_test_kernelI15HIP_vector_typeIlLj2EELj2ELj16EEvPT_S3_.numbered_sgpr, 7
	.set _Z18vector_test_kernelI15HIP_vector_typeIlLj2EELj2ELj16EEvPT_S3_.num_named_barrier, 0
	.set _Z18vector_test_kernelI15HIP_vector_typeIlLj2EELj2ELj16EEvPT_S3_.private_seg_size, 0
	.set _Z18vector_test_kernelI15HIP_vector_typeIlLj2EELj2ELj16EEvPT_S3_.uses_vcc, 1
	.set _Z18vector_test_kernelI15HIP_vector_typeIlLj2EELj2ELj16EEvPT_S3_.uses_flat_scratch, 0
	.set _Z18vector_test_kernelI15HIP_vector_typeIlLj2EELj2ELj16EEvPT_S3_.has_dyn_sized_stack, 0
	.set _Z18vector_test_kernelI15HIP_vector_typeIlLj2EELj2ELj16EEvPT_S3_.has_recursion, 0
	.set _Z18vector_test_kernelI15HIP_vector_typeIlLj2EELj2ELj16EEvPT_S3_.has_indirect_call, 0
	.section	.AMDGPU.csdata,"",@progbits
; Kernel info:
; codeLenInByte = 68
; TotalNumSgprs: 11
; NumVgprs: 6
; ScratchSize: 0
; MemoryBound: 0
; FloatMode: 240
; IeeeMode: 1
; LDSByteSize: 0 bytes/workgroup (compile time only)
; SGPRBlocks: 1
; VGPRBlocks: 1
; NumSGPRsForWavesPerEU: 11
; NumVGPRsForWavesPerEU: 6
; Occupancy: 10
; WaveLimiterHint : 0
; COMPUTE_PGM_RSRC2:SCRATCH_EN: 0
; COMPUTE_PGM_RSRC2:USER_SGPR: 6
; COMPUTE_PGM_RSRC2:TRAP_HANDLER: 0
; COMPUTE_PGM_RSRC2:TGID_X_EN: 1
; COMPUTE_PGM_RSRC2:TGID_Y_EN: 0
; COMPUTE_PGM_RSRC2:TGID_Z_EN: 0
; COMPUTE_PGM_RSRC2:TIDIG_COMP_CNT: 0
	.section	.text._Z18vector_test_kernelI15HIP_vector_typeIjLj2EELj2ELj16EEvPT_S3_,"axG",@progbits,_Z18vector_test_kernelI15HIP_vector_typeIjLj2EELj2ELj16EEvPT_S3_,comdat
	.protected	_Z18vector_test_kernelI15HIP_vector_typeIjLj2EELj2ELj16EEvPT_S3_ ; -- Begin function _Z18vector_test_kernelI15HIP_vector_typeIjLj2EELj2ELj16EEvPT_S3_
	.globl	_Z18vector_test_kernelI15HIP_vector_typeIjLj2EELj2ELj16EEvPT_S3_
	.p2align	8
	.type	_Z18vector_test_kernelI15HIP_vector_typeIjLj2EELj2ELj16EEvPT_S3_,@function
_Z18vector_test_kernelI15HIP_vector_typeIjLj2EELj2ELj16EEvPT_S3_: ; @_Z18vector_test_kernelI15HIP_vector_typeIjLj2EELj2ELj16EEvPT_S3_
; %bb.0:
	s_load_dwordx2 s[0:1], s[4:5], 0x8
	v_lshl_add_u32 v0, s6, 4, v0
	v_mov_b32_e32 v1, 0
	v_lshlrev_b64 v[2:3], 3, v[0:1]
	s_waitcnt lgkmcnt(0)
	v_mov_b32_e32 v0, s1
	v_add_co_u32_e32 v2, vcc, s0, v2
	v_addc_co_u32_e32 v3, vcc, v0, v3, vcc
	v_mov_b32_e32 v0, v1
	global_store_dwordx2 v[2:3], v[0:1], off
	s_endpgm
	.section	.rodata,"a",@progbits
	.p2align	6, 0x0
	.amdhsa_kernel _Z18vector_test_kernelI15HIP_vector_typeIjLj2EELj2ELj16EEvPT_S3_
		.amdhsa_group_segment_fixed_size 0
		.amdhsa_private_segment_fixed_size 0
		.amdhsa_kernarg_size 16
		.amdhsa_user_sgpr_count 6
		.amdhsa_user_sgpr_private_segment_buffer 1
		.amdhsa_user_sgpr_dispatch_ptr 0
		.amdhsa_user_sgpr_queue_ptr 0
		.amdhsa_user_sgpr_kernarg_segment_ptr 1
		.amdhsa_user_sgpr_dispatch_id 0
		.amdhsa_user_sgpr_flat_scratch_init 0
		.amdhsa_user_sgpr_private_segment_size 0
		.amdhsa_uses_dynamic_stack 0
		.amdhsa_system_sgpr_private_segment_wavefront_offset 0
		.amdhsa_system_sgpr_workgroup_id_x 1
		.amdhsa_system_sgpr_workgroup_id_y 0
		.amdhsa_system_sgpr_workgroup_id_z 0
		.amdhsa_system_sgpr_workgroup_info 0
		.amdhsa_system_vgpr_workitem_id 0
		.amdhsa_next_free_vgpr 4
		.amdhsa_next_free_sgpr 7
		.amdhsa_reserve_vcc 1
		.amdhsa_reserve_flat_scratch 0
		.amdhsa_float_round_mode_32 0
		.amdhsa_float_round_mode_16_64 0
		.amdhsa_float_denorm_mode_32 3
		.amdhsa_float_denorm_mode_16_64 3
		.amdhsa_dx10_clamp 1
		.amdhsa_ieee_mode 1
		.amdhsa_fp16_overflow 0
		.amdhsa_exception_fp_ieee_invalid_op 0
		.amdhsa_exception_fp_denorm_src 0
		.amdhsa_exception_fp_ieee_div_zero 0
		.amdhsa_exception_fp_ieee_overflow 0
		.amdhsa_exception_fp_ieee_underflow 0
		.amdhsa_exception_fp_ieee_inexact 0
		.amdhsa_exception_int_div_zero 0
	.end_amdhsa_kernel
	.section	.text._Z18vector_test_kernelI15HIP_vector_typeIjLj2EELj2ELj16EEvPT_S3_,"axG",@progbits,_Z18vector_test_kernelI15HIP_vector_typeIjLj2EELj2ELj16EEvPT_S3_,comdat
.Lfunc_end19:
	.size	_Z18vector_test_kernelI15HIP_vector_typeIjLj2EELj2ELj16EEvPT_S3_, .Lfunc_end19-_Z18vector_test_kernelI15HIP_vector_typeIjLj2EELj2ELj16EEvPT_S3_
                                        ; -- End function
	.set _Z18vector_test_kernelI15HIP_vector_typeIjLj2EELj2ELj16EEvPT_S3_.num_vgpr, 4
	.set _Z18vector_test_kernelI15HIP_vector_typeIjLj2EELj2ELj16EEvPT_S3_.num_agpr, 0
	.set _Z18vector_test_kernelI15HIP_vector_typeIjLj2EELj2ELj16EEvPT_S3_.numbered_sgpr, 7
	.set _Z18vector_test_kernelI15HIP_vector_typeIjLj2EELj2ELj16EEvPT_S3_.num_named_barrier, 0
	.set _Z18vector_test_kernelI15HIP_vector_typeIjLj2EELj2ELj16EEvPT_S3_.private_seg_size, 0
	.set _Z18vector_test_kernelI15HIP_vector_typeIjLj2EELj2ELj16EEvPT_S3_.uses_vcc, 1
	.set _Z18vector_test_kernelI15HIP_vector_typeIjLj2EELj2ELj16EEvPT_S3_.uses_flat_scratch, 0
	.set _Z18vector_test_kernelI15HIP_vector_typeIjLj2EELj2ELj16EEvPT_S3_.has_dyn_sized_stack, 0
	.set _Z18vector_test_kernelI15HIP_vector_typeIjLj2EELj2ELj16EEvPT_S3_.has_recursion, 0
	.set _Z18vector_test_kernelI15HIP_vector_typeIjLj2EELj2ELj16EEvPT_S3_.has_indirect_call, 0
	.section	.AMDGPU.csdata,"",@progbits
; Kernel info:
; codeLenInByte = 60
; TotalNumSgprs: 11
; NumVgprs: 4
; ScratchSize: 0
; MemoryBound: 0
; FloatMode: 240
; IeeeMode: 1
; LDSByteSize: 0 bytes/workgroup (compile time only)
; SGPRBlocks: 1
; VGPRBlocks: 0
; NumSGPRsForWavesPerEU: 11
; NumVGPRsForWavesPerEU: 4
; Occupancy: 10
; WaveLimiterHint : 0
; COMPUTE_PGM_RSRC2:SCRATCH_EN: 0
; COMPUTE_PGM_RSRC2:USER_SGPR: 6
; COMPUTE_PGM_RSRC2:TRAP_HANDLER: 0
; COMPUTE_PGM_RSRC2:TGID_X_EN: 1
; COMPUTE_PGM_RSRC2:TGID_Y_EN: 0
; COMPUTE_PGM_RSRC2:TGID_Z_EN: 0
; COMPUTE_PGM_RSRC2:TIDIG_COMP_CNT: 0
	.section	.text._Z18vector_test_kernelI15HIP_vector_typeIiLj2EELj2ELj16EEvPT_S3_,"axG",@progbits,_Z18vector_test_kernelI15HIP_vector_typeIiLj2EELj2ELj16EEvPT_S3_,comdat
	.protected	_Z18vector_test_kernelI15HIP_vector_typeIiLj2EELj2ELj16EEvPT_S3_ ; -- Begin function _Z18vector_test_kernelI15HIP_vector_typeIiLj2EELj2ELj16EEvPT_S3_
	.globl	_Z18vector_test_kernelI15HIP_vector_typeIiLj2EELj2ELj16EEvPT_S3_
	.p2align	8
	.type	_Z18vector_test_kernelI15HIP_vector_typeIiLj2EELj2ELj16EEvPT_S3_,@function
_Z18vector_test_kernelI15HIP_vector_typeIiLj2EELj2ELj16EEvPT_S3_: ; @_Z18vector_test_kernelI15HIP_vector_typeIiLj2EELj2ELj16EEvPT_S3_
; %bb.0:
	s_load_dwordx2 s[0:1], s[4:5], 0x8
	v_lshl_add_u32 v0, s6, 4, v0
	v_mov_b32_e32 v1, 0
	v_lshlrev_b64 v[2:3], 3, v[0:1]
	s_waitcnt lgkmcnt(0)
	v_mov_b32_e32 v0, s1
	v_add_co_u32_e32 v2, vcc, s0, v2
	v_addc_co_u32_e32 v3, vcc, v0, v3, vcc
	v_mov_b32_e32 v0, v1
	global_store_dwordx2 v[2:3], v[0:1], off
	s_endpgm
	.section	.rodata,"a",@progbits
	.p2align	6, 0x0
	.amdhsa_kernel _Z18vector_test_kernelI15HIP_vector_typeIiLj2EELj2ELj16EEvPT_S3_
		.amdhsa_group_segment_fixed_size 0
		.amdhsa_private_segment_fixed_size 0
		.amdhsa_kernarg_size 16
		.amdhsa_user_sgpr_count 6
		.amdhsa_user_sgpr_private_segment_buffer 1
		.amdhsa_user_sgpr_dispatch_ptr 0
		.amdhsa_user_sgpr_queue_ptr 0
		.amdhsa_user_sgpr_kernarg_segment_ptr 1
		.amdhsa_user_sgpr_dispatch_id 0
		.amdhsa_user_sgpr_flat_scratch_init 0
		.amdhsa_user_sgpr_private_segment_size 0
		.amdhsa_uses_dynamic_stack 0
		.amdhsa_system_sgpr_private_segment_wavefront_offset 0
		.amdhsa_system_sgpr_workgroup_id_x 1
		.amdhsa_system_sgpr_workgroup_id_y 0
		.amdhsa_system_sgpr_workgroup_id_z 0
		.amdhsa_system_sgpr_workgroup_info 0
		.amdhsa_system_vgpr_workitem_id 0
		.amdhsa_next_free_vgpr 4
		.amdhsa_next_free_sgpr 7
		.amdhsa_reserve_vcc 1
		.amdhsa_reserve_flat_scratch 0
		.amdhsa_float_round_mode_32 0
		.amdhsa_float_round_mode_16_64 0
		.amdhsa_float_denorm_mode_32 3
		.amdhsa_float_denorm_mode_16_64 3
		.amdhsa_dx10_clamp 1
		.amdhsa_ieee_mode 1
		.amdhsa_fp16_overflow 0
		.amdhsa_exception_fp_ieee_invalid_op 0
		.amdhsa_exception_fp_denorm_src 0
		.amdhsa_exception_fp_ieee_div_zero 0
		.amdhsa_exception_fp_ieee_overflow 0
		.amdhsa_exception_fp_ieee_underflow 0
		.amdhsa_exception_fp_ieee_inexact 0
		.amdhsa_exception_int_div_zero 0
	.end_amdhsa_kernel
	.section	.text._Z18vector_test_kernelI15HIP_vector_typeIiLj2EELj2ELj16EEvPT_S3_,"axG",@progbits,_Z18vector_test_kernelI15HIP_vector_typeIiLj2EELj2ELj16EEvPT_S3_,comdat
.Lfunc_end20:
	.size	_Z18vector_test_kernelI15HIP_vector_typeIiLj2EELj2ELj16EEvPT_S3_, .Lfunc_end20-_Z18vector_test_kernelI15HIP_vector_typeIiLj2EELj2ELj16EEvPT_S3_
                                        ; -- End function
	.set _Z18vector_test_kernelI15HIP_vector_typeIiLj2EELj2ELj16EEvPT_S3_.num_vgpr, 4
	.set _Z18vector_test_kernelI15HIP_vector_typeIiLj2EELj2ELj16EEvPT_S3_.num_agpr, 0
	.set _Z18vector_test_kernelI15HIP_vector_typeIiLj2EELj2ELj16EEvPT_S3_.numbered_sgpr, 7
	.set _Z18vector_test_kernelI15HIP_vector_typeIiLj2EELj2ELj16EEvPT_S3_.num_named_barrier, 0
	.set _Z18vector_test_kernelI15HIP_vector_typeIiLj2EELj2ELj16EEvPT_S3_.private_seg_size, 0
	.set _Z18vector_test_kernelI15HIP_vector_typeIiLj2EELj2ELj16EEvPT_S3_.uses_vcc, 1
	.set _Z18vector_test_kernelI15HIP_vector_typeIiLj2EELj2ELj16EEvPT_S3_.uses_flat_scratch, 0
	.set _Z18vector_test_kernelI15HIP_vector_typeIiLj2EELj2ELj16EEvPT_S3_.has_dyn_sized_stack, 0
	.set _Z18vector_test_kernelI15HIP_vector_typeIiLj2EELj2ELj16EEvPT_S3_.has_recursion, 0
	.set _Z18vector_test_kernelI15HIP_vector_typeIiLj2EELj2ELj16EEvPT_S3_.has_indirect_call, 0
	.section	.AMDGPU.csdata,"",@progbits
; Kernel info:
; codeLenInByte = 60
; TotalNumSgprs: 11
; NumVgprs: 4
; ScratchSize: 0
; MemoryBound: 0
; FloatMode: 240
; IeeeMode: 1
; LDSByteSize: 0 bytes/workgroup (compile time only)
; SGPRBlocks: 1
; VGPRBlocks: 0
; NumSGPRsForWavesPerEU: 11
; NumVGPRsForWavesPerEU: 4
; Occupancy: 10
; WaveLimiterHint : 0
; COMPUTE_PGM_RSRC2:SCRATCH_EN: 0
; COMPUTE_PGM_RSRC2:USER_SGPR: 6
; COMPUTE_PGM_RSRC2:TRAP_HANDLER: 0
; COMPUTE_PGM_RSRC2:TGID_X_EN: 1
; COMPUTE_PGM_RSRC2:TGID_Y_EN: 0
; COMPUTE_PGM_RSRC2:TGID_Z_EN: 0
; COMPUTE_PGM_RSRC2:TIDIG_COMP_CNT: 0
	.section	.text._Z18vector_test_kernelI15HIP_vector_typeItLj2EELj2ELj16EEvPT_S3_,"axG",@progbits,_Z18vector_test_kernelI15HIP_vector_typeItLj2EELj2ELj16EEvPT_S3_,comdat
	.protected	_Z18vector_test_kernelI15HIP_vector_typeItLj2EELj2ELj16EEvPT_S3_ ; -- Begin function _Z18vector_test_kernelI15HIP_vector_typeItLj2EELj2ELj16EEvPT_S3_
	.globl	_Z18vector_test_kernelI15HIP_vector_typeItLj2EELj2ELj16EEvPT_S3_
	.p2align	8
	.type	_Z18vector_test_kernelI15HIP_vector_typeItLj2EELj2ELj16EEvPT_S3_,@function
_Z18vector_test_kernelI15HIP_vector_typeItLj2EELj2ELj16EEvPT_S3_: ; @_Z18vector_test_kernelI15HIP_vector_typeItLj2EELj2ELj16EEvPT_S3_
; %bb.0:
	s_load_dwordx2 s[0:1], s[4:5], 0x8
	v_lshl_add_u32 v0, s6, 4, v0
	v_mov_b32_e32 v1, 0
	v_lshlrev_b64 v[2:3], 2, v[0:1]
	s_waitcnt lgkmcnt(0)
	v_mov_b32_e32 v0, s1
	v_add_co_u32_e32 v2, vcc, s0, v2
	v_addc_co_u32_e32 v3, vcc, v0, v3, vcc
	global_store_dword v[2:3], v1, off
	s_endpgm
	.section	.rodata,"a",@progbits
	.p2align	6, 0x0
	.amdhsa_kernel _Z18vector_test_kernelI15HIP_vector_typeItLj2EELj2ELj16EEvPT_S3_
		.amdhsa_group_segment_fixed_size 0
		.amdhsa_private_segment_fixed_size 0
		.amdhsa_kernarg_size 16
		.amdhsa_user_sgpr_count 6
		.amdhsa_user_sgpr_private_segment_buffer 1
		.amdhsa_user_sgpr_dispatch_ptr 0
		.amdhsa_user_sgpr_queue_ptr 0
		.amdhsa_user_sgpr_kernarg_segment_ptr 1
		.amdhsa_user_sgpr_dispatch_id 0
		.amdhsa_user_sgpr_flat_scratch_init 0
		.amdhsa_user_sgpr_private_segment_size 0
		.amdhsa_uses_dynamic_stack 0
		.amdhsa_system_sgpr_private_segment_wavefront_offset 0
		.amdhsa_system_sgpr_workgroup_id_x 1
		.amdhsa_system_sgpr_workgroup_id_y 0
		.amdhsa_system_sgpr_workgroup_id_z 0
		.amdhsa_system_sgpr_workgroup_info 0
		.amdhsa_system_vgpr_workitem_id 0
		.amdhsa_next_free_vgpr 4
		.amdhsa_next_free_sgpr 7
		.amdhsa_reserve_vcc 1
		.amdhsa_reserve_flat_scratch 0
		.amdhsa_float_round_mode_32 0
		.amdhsa_float_round_mode_16_64 0
		.amdhsa_float_denorm_mode_32 3
		.amdhsa_float_denorm_mode_16_64 3
		.amdhsa_dx10_clamp 1
		.amdhsa_ieee_mode 1
		.amdhsa_fp16_overflow 0
		.amdhsa_exception_fp_ieee_invalid_op 0
		.amdhsa_exception_fp_denorm_src 0
		.amdhsa_exception_fp_ieee_div_zero 0
		.amdhsa_exception_fp_ieee_overflow 0
		.amdhsa_exception_fp_ieee_underflow 0
		.amdhsa_exception_fp_ieee_inexact 0
		.amdhsa_exception_int_div_zero 0
	.end_amdhsa_kernel
	.section	.text._Z18vector_test_kernelI15HIP_vector_typeItLj2EELj2ELj16EEvPT_S3_,"axG",@progbits,_Z18vector_test_kernelI15HIP_vector_typeItLj2EELj2ELj16EEvPT_S3_,comdat
.Lfunc_end21:
	.size	_Z18vector_test_kernelI15HIP_vector_typeItLj2EELj2ELj16EEvPT_S3_, .Lfunc_end21-_Z18vector_test_kernelI15HIP_vector_typeItLj2EELj2ELj16EEvPT_S3_
                                        ; -- End function
	.set _Z18vector_test_kernelI15HIP_vector_typeItLj2EELj2ELj16EEvPT_S3_.num_vgpr, 4
	.set _Z18vector_test_kernelI15HIP_vector_typeItLj2EELj2ELj16EEvPT_S3_.num_agpr, 0
	.set _Z18vector_test_kernelI15HIP_vector_typeItLj2EELj2ELj16EEvPT_S3_.numbered_sgpr, 7
	.set _Z18vector_test_kernelI15HIP_vector_typeItLj2EELj2ELj16EEvPT_S3_.num_named_barrier, 0
	.set _Z18vector_test_kernelI15HIP_vector_typeItLj2EELj2ELj16EEvPT_S3_.private_seg_size, 0
	.set _Z18vector_test_kernelI15HIP_vector_typeItLj2EELj2ELj16EEvPT_S3_.uses_vcc, 1
	.set _Z18vector_test_kernelI15HIP_vector_typeItLj2EELj2ELj16EEvPT_S3_.uses_flat_scratch, 0
	.set _Z18vector_test_kernelI15HIP_vector_typeItLj2EELj2ELj16EEvPT_S3_.has_dyn_sized_stack, 0
	.set _Z18vector_test_kernelI15HIP_vector_typeItLj2EELj2ELj16EEvPT_S3_.has_recursion, 0
	.set _Z18vector_test_kernelI15HIP_vector_typeItLj2EELj2ELj16EEvPT_S3_.has_indirect_call, 0
	.section	.AMDGPU.csdata,"",@progbits
; Kernel info:
; codeLenInByte = 56
; TotalNumSgprs: 11
; NumVgprs: 4
; ScratchSize: 0
; MemoryBound: 0
; FloatMode: 240
; IeeeMode: 1
; LDSByteSize: 0 bytes/workgroup (compile time only)
; SGPRBlocks: 1
; VGPRBlocks: 0
; NumSGPRsForWavesPerEU: 11
; NumVGPRsForWavesPerEU: 4
; Occupancy: 10
; WaveLimiterHint : 0
; COMPUTE_PGM_RSRC2:SCRATCH_EN: 0
; COMPUTE_PGM_RSRC2:USER_SGPR: 6
; COMPUTE_PGM_RSRC2:TRAP_HANDLER: 0
; COMPUTE_PGM_RSRC2:TGID_X_EN: 1
; COMPUTE_PGM_RSRC2:TGID_Y_EN: 0
; COMPUTE_PGM_RSRC2:TGID_Z_EN: 0
; COMPUTE_PGM_RSRC2:TIDIG_COMP_CNT: 0
	.section	.text._Z18vector_test_kernelI15HIP_vector_typeIsLj2EELj2ELj16EEvPT_S3_,"axG",@progbits,_Z18vector_test_kernelI15HIP_vector_typeIsLj2EELj2ELj16EEvPT_S3_,comdat
	.protected	_Z18vector_test_kernelI15HIP_vector_typeIsLj2EELj2ELj16EEvPT_S3_ ; -- Begin function _Z18vector_test_kernelI15HIP_vector_typeIsLj2EELj2ELj16EEvPT_S3_
	.globl	_Z18vector_test_kernelI15HIP_vector_typeIsLj2EELj2ELj16EEvPT_S3_
	.p2align	8
	.type	_Z18vector_test_kernelI15HIP_vector_typeIsLj2EELj2ELj16EEvPT_S3_,@function
_Z18vector_test_kernelI15HIP_vector_typeIsLj2EELj2ELj16EEvPT_S3_: ; @_Z18vector_test_kernelI15HIP_vector_typeIsLj2EELj2ELj16EEvPT_S3_
; %bb.0:
	s_load_dwordx2 s[0:1], s[4:5], 0x8
	v_lshl_add_u32 v0, s6, 4, v0
	v_mov_b32_e32 v1, 0
	v_lshlrev_b64 v[2:3], 2, v[0:1]
	s_waitcnt lgkmcnt(0)
	v_mov_b32_e32 v0, s1
	v_add_co_u32_e32 v2, vcc, s0, v2
	v_addc_co_u32_e32 v3, vcc, v0, v3, vcc
	global_store_dword v[2:3], v1, off
	s_endpgm
	.section	.rodata,"a",@progbits
	.p2align	6, 0x0
	.amdhsa_kernel _Z18vector_test_kernelI15HIP_vector_typeIsLj2EELj2ELj16EEvPT_S3_
		.amdhsa_group_segment_fixed_size 0
		.amdhsa_private_segment_fixed_size 0
		.amdhsa_kernarg_size 16
		.amdhsa_user_sgpr_count 6
		.amdhsa_user_sgpr_private_segment_buffer 1
		.amdhsa_user_sgpr_dispatch_ptr 0
		.amdhsa_user_sgpr_queue_ptr 0
		.amdhsa_user_sgpr_kernarg_segment_ptr 1
		.amdhsa_user_sgpr_dispatch_id 0
		.amdhsa_user_sgpr_flat_scratch_init 0
		.amdhsa_user_sgpr_private_segment_size 0
		.amdhsa_uses_dynamic_stack 0
		.amdhsa_system_sgpr_private_segment_wavefront_offset 0
		.amdhsa_system_sgpr_workgroup_id_x 1
		.amdhsa_system_sgpr_workgroup_id_y 0
		.amdhsa_system_sgpr_workgroup_id_z 0
		.amdhsa_system_sgpr_workgroup_info 0
		.amdhsa_system_vgpr_workitem_id 0
		.amdhsa_next_free_vgpr 4
		.amdhsa_next_free_sgpr 7
		.amdhsa_reserve_vcc 1
		.amdhsa_reserve_flat_scratch 0
		.amdhsa_float_round_mode_32 0
		.amdhsa_float_round_mode_16_64 0
		.amdhsa_float_denorm_mode_32 3
		.amdhsa_float_denorm_mode_16_64 3
		.amdhsa_dx10_clamp 1
		.amdhsa_ieee_mode 1
		.amdhsa_fp16_overflow 0
		.amdhsa_exception_fp_ieee_invalid_op 0
		.amdhsa_exception_fp_denorm_src 0
		.amdhsa_exception_fp_ieee_div_zero 0
		.amdhsa_exception_fp_ieee_overflow 0
		.amdhsa_exception_fp_ieee_underflow 0
		.amdhsa_exception_fp_ieee_inexact 0
		.amdhsa_exception_int_div_zero 0
	.end_amdhsa_kernel
	.section	.text._Z18vector_test_kernelI15HIP_vector_typeIsLj2EELj2ELj16EEvPT_S3_,"axG",@progbits,_Z18vector_test_kernelI15HIP_vector_typeIsLj2EELj2ELj16EEvPT_S3_,comdat
.Lfunc_end22:
	.size	_Z18vector_test_kernelI15HIP_vector_typeIsLj2EELj2ELj16EEvPT_S3_, .Lfunc_end22-_Z18vector_test_kernelI15HIP_vector_typeIsLj2EELj2ELj16EEvPT_S3_
                                        ; -- End function
	.set _Z18vector_test_kernelI15HIP_vector_typeIsLj2EELj2ELj16EEvPT_S3_.num_vgpr, 4
	.set _Z18vector_test_kernelI15HIP_vector_typeIsLj2EELj2ELj16EEvPT_S3_.num_agpr, 0
	.set _Z18vector_test_kernelI15HIP_vector_typeIsLj2EELj2ELj16EEvPT_S3_.numbered_sgpr, 7
	.set _Z18vector_test_kernelI15HIP_vector_typeIsLj2EELj2ELj16EEvPT_S3_.num_named_barrier, 0
	.set _Z18vector_test_kernelI15HIP_vector_typeIsLj2EELj2ELj16EEvPT_S3_.private_seg_size, 0
	.set _Z18vector_test_kernelI15HIP_vector_typeIsLj2EELj2ELj16EEvPT_S3_.uses_vcc, 1
	.set _Z18vector_test_kernelI15HIP_vector_typeIsLj2EELj2ELj16EEvPT_S3_.uses_flat_scratch, 0
	.set _Z18vector_test_kernelI15HIP_vector_typeIsLj2EELj2ELj16EEvPT_S3_.has_dyn_sized_stack, 0
	.set _Z18vector_test_kernelI15HIP_vector_typeIsLj2EELj2ELj16EEvPT_S3_.has_recursion, 0
	.set _Z18vector_test_kernelI15HIP_vector_typeIsLj2EELj2ELj16EEvPT_S3_.has_indirect_call, 0
	.section	.AMDGPU.csdata,"",@progbits
; Kernel info:
; codeLenInByte = 56
; TotalNumSgprs: 11
; NumVgprs: 4
; ScratchSize: 0
; MemoryBound: 0
; FloatMode: 240
; IeeeMode: 1
; LDSByteSize: 0 bytes/workgroup (compile time only)
; SGPRBlocks: 1
; VGPRBlocks: 0
; NumSGPRsForWavesPerEU: 11
; NumVGPRsForWavesPerEU: 4
; Occupancy: 10
; WaveLimiterHint : 0
; COMPUTE_PGM_RSRC2:SCRATCH_EN: 0
; COMPUTE_PGM_RSRC2:USER_SGPR: 6
; COMPUTE_PGM_RSRC2:TRAP_HANDLER: 0
; COMPUTE_PGM_RSRC2:TGID_X_EN: 1
; COMPUTE_PGM_RSRC2:TGID_Y_EN: 0
; COMPUTE_PGM_RSRC2:TGID_Z_EN: 0
; COMPUTE_PGM_RSRC2:TIDIG_COMP_CNT: 0
	.section	.text._Z18vector_test_kernelI15HIP_vector_typeIcLj2EELj2ELj16EEvPT_S3_,"axG",@progbits,_Z18vector_test_kernelI15HIP_vector_typeIcLj2EELj2ELj16EEvPT_S3_,comdat
	.protected	_Z18vector_test_kernelI15HIP_vector_typeIcLj2EELj2ELj16EEvPT_S3_ ; -- Begin function _Z18vector_test_kernelI15HIP_vector_typeIcLj2EELj2ELj16EEvPT_S3_
	.globl	_Z18vector_test_kernelI15HIP_vector_typeIcLj2EELj2ELj16EEvPT_S3_
	.p2align	8
	.type	_Z18vector_test_kernelI15HIP_vector_typeIcLj2EELj2ELj16EEvPT_S3_,@function
_Z18vector_test_kernelI15HIP_vector_typeIcLj2EELj2ELj16EEvPT_S3_: ; @_Z18vector_test_kernelI15HIP_vector_typeIcLj2EELj2ELj16EEvPT_S3_
; %bb.0:
	s_load_dwordx2 s[0:1], s[4:5], 0x8
	v_lshl_add_u32 v0, s6, 4, v0
	v_mov_b32_e32 v1, 0
	v_lshlrev_b64 v[2:3], 1, v[0:1]
	s_waitcnt lgkmcnt(0)
	v_mov_b32_e32 v0, s1
	v_add_co_u32_e32 v2, vcc, s0, v2
	v_addc_co_u32_e32 v3, vcc, v0, v3, vcc
	global_store_short v[2:3], v1, off
	s_endpgm
	.section	.rodata,"a",@progbits
	.p2align	6, 0x0
	.amdhsa_kernel _Z18vector_test_kernelI15HIP_vector_typeIcLj2EELj2ELj16EEvPT_S3_
		.amdhsa_group_segment_fixed_size 0
		.amdhsa_private_segment_fixed_size 0
		.amdhsa_kernarg_size 16
		.amdhsa_user_sgpr_count 6
		.amdhsa_user_sgpr_private_segment_buffer 1
		.amdhsa_user_sgpr_dispatch_ptr 0
		.amdhsa_user_sgpr_queue_ptr 0
		.amdhsa_user_sgpr_kernarg_segment_ptr 1
		.amdhsa_user_sgpr_dispatch_id 0
		.amdhsa_user_sgpr_flat_scratch_init 0
		.amdhsa_user_sgpr_private_segment_size 0
		.amdhsa_uses_dynamic_stack 0
		.amdhsa_system_sgpr_private_segment_wavefront_offset 0
		.amdhsa_system_sgpr_workgroup_id_x 1
		.amdhsa_system_sgpr_workgroup_id_y 0
		.amdhsa_system_sgpr_workgroup_id_z 0
		.amdhsa_system_sgpr_workgroup_info 0
		.amdhsa_system_vgpr_workitem_id 0
		.amdhsa_next_free_vgpr 4
		.amdhsa_next_free_sgpr 7
		.amdhsa_reserve_vcc 1
		.amdhsa_reserve_flat_scratch 0
		.amdhsa_float_round_mode_32 0
		.amdhsa_float_round_mode_16_64 0
		.amdhsa_float_denorm_mode_32 3
		.amdhsa_float_denorm_mode_16_64 3
		.amdhsa_dx10_clamp 1
		.amdhsa_ieee_mode 1
		.amdhsa_fp16_overflow 0
		.amdhsa_exception_fp_ieee_invalid_op 0
		.amdhsa_exception_fp_denorm_src 0
		.amdhsa_exception_fp_ieee_div_zero 0
		.amdhsa_exception_fp_ieee_overflow 0
		.amdhsa_exception_fp_ieee_underflow 0
		.amdhsa_exception_fp_ieee_inexact 0
		.amdhsa_exception_int_div_zero 0
	.end_amdhsa_kernel
	.section	.text._Z18vector_test_kernelI15HIP_vector_typeIcLj2EELj2ELj16EEvPT_S3_,"axG",@progbits,_Z18vector_test_kernelI15HIP_vector_typeIcLj2EELj2ELj16EEvPT_S3_,comdat
.Lfunc_end23:
	.size	_Z18vector_test_kernelI15HIP_vector_typeIcLj2EELj2ELj16EEvPT_S3_, .Lfunc_end23-_Z18vector_test_kernelI15HIP_vector_typeIcLj2EELj2ELj16EEvPT_S3_
                                        ; -- End function
	.set _Z18vector_test_kernelI15HIP_vector_typeIcLj2EELj2ELj16EEvPT_S3_.num_vgpr, 4
	.set _Z18vector_test_kernelI15HIP_vector_typeIcLj2EELj2ELj16EEvPT_S3_.num_agpr, 0
	.set _Z18vector_test_kernelI15HIP_vector_typeIcLj2EELj2ELj16EEvPT_S3_.numbered_sgpr, 7
	.set _Z18vector_test_kernelI15HIP_vector_typeIcLj2EELj2ELj16EEvPT_S3_.num_named_barrier, 0
	.set _Z18vector_test_kernelI15HIP_vector_typeIcLj2EELj2ELj16EEvPT_S3_.private_seg_size, 0
	.set _Z18vector_test_kernelI15HIP_vector_typeIcLj2EELj2ELj16EEvPT_S3_.uses_vcc, 1
	.set _Z18vector_test_kernelI15HIP_vector_typeIcLj2EELj2ELj16EEvPT_S3_.uses_flat_scratch, 0
	.set _Z18vector_test_kernelI15HIP_vector_typeIcLj2EELj2ELj16EEvPT_S3_.has_dyn_sized_stack, 0
	.set _Z18vector_test_kernelI15HIP_vector_typeIcLj2EELj2ELj16EEvPT_S3_.has_recursion, 0
	.set _Z18vector_test_kernelI15HIP_vector_typeIcLj2EELj2ELj16EEvPT_S3_.has_indirect_call, 0
	.section	.AMDGPU.csdata,"",@progbits
; Kernel info:
; codeLenInByte = 56
; TotalNumSgprs: 11
; NumVgprs: 4
; ScratchSize: 0
; MemoryBound: 0
; FloatMode: 240
; IeeeMode: 1
; LDSByteSize: 0 bytes/workgroup (compile time only)
; SGPRBlocks: 1
; VGPRBlocks: 0
; NumSGPRsForWavesPerEU: 11
; NumVGPRsForWavesPerEU: 4
; Occupancy: 10
; WaveLimiterHint : 0
; COMPUTE_PGM_RSRC2:SCRATCH_EN: 0
; COMPUTE_PGM_RSRC2:USER_SGPR: 6
; COMPUTE_PGM_RSRC2:TRAP_HANDLER: 0
; COMPUTE_PGM_RSRC2:TGID_X_EN: 1
; COMPUTE_PGM_RSRC2:TGID_Y_EN: 0
; COMPUTE_PGM_RSRC2:TGID_Z_EN: 0
; COMPUTE_PGM_RSRC2:TIDIG_COMP_CNT: 0
	.section	.text._Z18vector_test_kernelI15HIP_vector_typeIhLj3EELj3ELj16EEvPT_S3_,"axG",@progbits,_Z18vector_test_kernelI15HIP_vector_typeIhLj3EELj3ELj16EEvPT_S3_,comdat
	.protected	_Z18vector_test_kernelI15HIP_vector_typeIhLj3EELj3ELj16EEvPT_S3_ ; -- Begin function _Z18vector_test_kernelI15HIP_vector_typeIhLj3EELj3ELj16EEvPT_S3_
	.globl	_Z18vector_test_kernelI15HIP_vector_typeIhLj3EELj3ELj16EEvPT_S3_
	.p2align	8
	.type	_Z18vector_test_kernelI15HIP_vector_typeIhLj3EELj3ELj16EEvPT_S3_,@function
_Z18vector_test_kernelI15HIP_vector_typeIhLj3EELj3ELj16EEvPT_S3_: ; @_Z18vector_test_kernelI15HIP_vector_typeIhLj3EELj3ELj16EEvPT_S3_
; %bb.0:
	s_load_dwordx2 s[0:1], s[4:5], 0x8
	v_lshl_add_u32 v0, s6, 4, v0
	v_mov_b32_e32 v2, 0
	s_waitcnt lgkmcnt(0)
	v_mad_u64_u32 v[0:1], s[0:1], v0, 3, s[0:1]
	global_store_byte v[0:1], v2, off offset:2
	global_store_short v[0:1], v2, off
	s_endpgm
	.section	.rodata,"a",@progbits
	.p2align	6, 0x0
	.amdhsa_kernel _Z18vector_test_kernelI15HIP_vector_typeIhLj3EELj3ELj16EEvPT_S3_
		.amdhsa_group_segment_fixed_size 0
		.amdhsa_private_segment_fixed_size 0
		.amdhsa_kernarg_size 16
		.amdhsa_user_sgpr_count 6
		.amdhsa_user_sgpr_private_segment_buffer 1
		.amdhsa_user_sgpr_dispatch_ptr 0
		.amdhsa_user_sgpr_queue_ptr 0
		.amdhsa_user_sgpr_kernarg_segment_ptr 1
		.amdhsa_user_sgpr_dispatch_id 0
		.amdhsa_user_sgpr_flat_scratch_init 0
		.amdhsa_user_sgpr_private_segment_size 0
		.amdhsa_uses_dynamic_stack 0
		.amdhsa_system_sgpr_private_segment_wavefront_offset 0
		.amdhsa_system_sgpr_workgroup_id_x 1
		.amdhsa_system_sgpr_workgroup_id_y 0
		.amdhsa_system_sgpr_workgroup_id_z 0
		.amdhsa_system_sgpr_workgroup_info 0
		.amdhsa_system_vgpr_workitem_id 0
		.amdhsa_next_free_vgpr 3
		.amdhsa_next_free_sgpr 7
		.amdhsa_reserve_vcc 0
		.amdhsa_reserve_flat_scratch 0
		.amdhsa_float_round_mode_32 0
		.amdhsa_float_round_mode_16_64 0
		.amdhsa_float_denorm_mode_32 3
		.amdhsa_float_denorm_mode_16_64 3
		.amdhsa_dx10_clamp 1
		.amdhsa_ieee_mode 1
		.amdhsa_fp16_overflow 0
		.amdhsa_exception_fp_ieee_invalid_op 0
		.amdhsa_exception_fp_denorm_src 0
		.amdhsa_exception_fp_ieee_div_zero 0
		.amdhsa_exception_fp_ieee_overflow 0
		.amdhsa_exception_fp_ieee_underflow 0
		.amdhsa_exception_fp_ieee_inexact 0
		.amdhsa_exception_int_div_zero 0
	.end_amdhsa_kernel
	.section	.text._Z18vector_test_kernelI15HIP_vector_typeIhLj3EELj3ELj16EEvPT_S3_,"axG",@progbits,_Z18vector_test_kernelI15HIP_vector_typeIhLj3EELj3ELj16EEvPT_S3_,comdat
.Lfunc_end24:
	.size	_Z18vector_test_kernelI15HIP_vector_typeIhLj3EELj3ELj16EEvPT_S3_, .Lfunc_end24-_Z18vector_test_kernelI15HIP_vector_typeIhLj3EELj3ELj16EEvPT_S3_
                                        ; -- End function
	.set _Z18vector_test_kernelI15HIP_vector_typeIhLj3EELj3ELj16EEvPT_S3_.num_vgpr, 3
	.set _Z18vector_test_kernelI15HIP_vector_typeIhLj3EELj3ELj16EEvPT_S3_.num_agpr, 0
	.set _Z18vector_test_kernelI15HIP_vector_typeIhLj3EELj3ELj16EEvPT_S3_.numbered_sgpr, 7
	.set _Z18vector_test_kernelI15HIP_vector_typeIhLj3EELj3ELj16EEvPT_S3_.num_named_barrier, 0
	.set _Z18vector_test_kernelI15HIP_vector_typeIhLj3EELj3ELj16EEvPT_S3_.private_seg_size, 0
	.set _Z18vector_test_kernelI15HIP_vector_typeIhLj3EELj3ELj16EEvPT_S3_.uses_vcc, 0
	.set _Z18vector_test_kernelI15HIP_vector_typeIhLj3EELj3ELj16EEvPT_S3_.uses_flat_scratch, 0
	.set _Z18vector_test_kernelI15HIP_vector_typeIhLj3EELj3ELj16EEvPT_S3_.has_dyn_sized_stack, 0
	.set _Z18vector_test_kernelI15HIP_vector_typeIhLj3EELj3ELj16EEvPT_S3_.has_recursion, 0
	.set _Z18vector_test_kernelI15HIP_vector_typeIhLj3EELj3ELj16EEvPT_S3_.has_indirect_call, 0
	.section	.AMDGPU.csdata,"",@progbits
; Kernel info:
; codeLenInByte = 52
; TotalNumSgprs: 11
; NumVgprs: 3
; ScratchSize: 0
; MemoryBound: 0
; FloatMode: 240
; IeeeMode: 1
; LDSByteSize: 0 bytes/workgroup (compile time only)
; SGPRBlocks: 1
; VGPRBlocks: 0
; NumSGPRsForWavesPerEU: 11
; NumVGPRsForWavesPerEU: 3
; Occupancy: 10
; WaveLimiterHint : 0
; COMPUTE_PGM_RSRC2:SCRATCH_EN: 0
; COMPUTE_PGM_RSRC2:USER_SGPR: 6
; COMPUTE_PGM_RSRC2:TRAP_HANDLER: 0
; COMPUTE_PGM_RSRC2:TGID_X_EN: 1
; COMPUTE_PGM_RSRC2:TGID_Y_EN: 0
; COMPUTE_PGM_RSRC2:TGID_Z_EN: 0
; COMPUTE_PGM_RSRC2:TIDIG_COMP_CNT: 0
	.section	.text._Z18vector_test_kernelI15HIP_vector_typeIdLj3EELj3ELj16EEvPT_S3_,"axG",@progbits,_Z18vector_test_kernelI15HIP_vector_typeIdLj3EELj3ELj16EEvPT_S3_,comdat
	.protected	_Z18vector_test_kernelI15HIP_vector_typeIdLj3EELj3ELj16EEvPT_S3_ ; -- Begin function _Z18vector_test_kernelI15HIP_vector_typeIdLj3EELj3ELj16EEvPT_S3_
	.globl	_Z18vector_test_kernelI15HIP_vector_typeIdLj3EELj3ELj16EEvPT_S3_
	.p2align	8
	.type	_Z18vector_test_kernelI15HIP_vector_typeIdLj3EELj3ELj16EEvPT_S3_,@function
_Z18vector_test_kernelI15HIP_vector_typeIdLj3EELj3ELj16EEvPT_S3_: ; @_Z18vector_test_kernelI15HIP_vector_typeIdLj3EELj3ELj16EEvPT_S3_
; %bb.0:
	s_load_dwordx4 s[0:3], s[4:5], 0x0
	v_lshl_add_u32 v8, s6, 4, v0
	s_waitcnt lgkmcnt(0)
	v_mov_b32_e32 v0, s0
	v_mov_b32_e32 v1, s1
	v_mad_u64_u32 v[4:5], s[0:1], v8, 24, v[0:1]
	global_load_dwordx4 v[0:3], v[4:5], off
	global_load_dwordx2 v[6:7], v[4:5], off offset:16
	v_mov_b32_e32 v4, s2
	v_mov_b32_e32 v5, s3
	v_mad_u64_u32 v[4:5], s[0:1], v8, 24, v[4:5]
	s_waitcnt vmcnt(1)
	v_add_f64 v[0:1], v[0:1], -v[0:1]
	v_add_f64 v[2:3], v[2:3], -v[2:3]
	s_waitcnt vmcnt(0)
	v_add_f64 v[6:7], v[6:7], -v[6:7]
	global_store_dwordx4 v[4:5], v[0:3], off
	global_store_dwordx2 v[4:5], v[6:7], off offset:16
	s_endpgm
	.section	.rodata,"a",@progbits
	.p2align	6, 0x0
	.amdhsa_kernel _Z18vector_test_kernelI15HIP_vector_typeIdLj3EELj3ELj16EEvPT_S3_
		.amdhsa_group_segment_fixed_size 0
		.amdhsa_private_segment_fixed_size 0
		.amdhsa_kernarg_size 16
		.amdhsa_user_sgpr_count 6
		.amdhsa_user_sgpr_private_segment_buffer 1
		.amdhsa_user_sgpr_dispatch_ptr 0
		.amdhsa_user_sgpr_queue_ptr 0
		.amdhsa_user_sgpr_kernarg_segment_ptr 1
		.amdhsa_user_sgpr_dispatch_id 0
		.amdhsa_user_sgpr_flat_scratch_init 0
		.amdhsa_user_sgpr_private_segment_size 0
		.amdhsa_uses_dynamic_stack 0
		.amdhsa_system_sgpr_private_segment_wavefront_offset 0
		.amdhsa_system_sgpr_workgroup_id_x 1
		.amdhsa_system_sgpr_workgroup_id_y 0
		.amdhsa_system_sgpr_workgroup_id_z 0
		.amdhsa_system_sgpr_workgroup_info 0
		.amdhsa_system_vgpr_workitem_id 0
		.amdhsa_next_free_vgpr 9
		.amdhsa_next_free_sgpr 7
		.amdhsa_reserve_vcc 0
		.amdhsa_reserve_flat_scratch 0
		.amdhsa_float_round_mode_32 0
		.amdhsa_float_round_mode_16_64 0
		.amdhsa_float_denorm_mode_32 3
		.amdhsa_float_denorm_mode_16_64 3
		.amdhsa_dx10_clamp 1
		.amdhsa_ieee_mode 1
		.amdhsa_fp16_overflow 0
		.amdhsa_exception_fp_ieee_invalid_op 0
		.amdhsa_exception_fp_denorm_src 0
		.amdhsa_exception_fp_ieee_div_zero 0
		.amdhsa_exception_fp_ieee_overflow 0
		.amdhsa_exception_fp_ieee_underflow 0
		.amdhsa_exception_fp_ieee_inexact 0
		.amdhsa_exception_int_div_zero 0
	.end_amdhsa_kernel
	.section	.text._Z18vector_test_kernelI15HIP_vector_typeIdLj3EELj3ELj16EEvPT_S3_,"axG",@progbits,_Z18vector_test_kernelI15HIP_vector_typeIdLj3EELj3ELj16EEvPT_S3_,comdat
.Lfunc_end25:
	.size	_Z18vector_test_kernelI15HIP_vector_typeIdLj3EELj3ELj16EEvPT_S3_, .Lfunc_end25-_Z18vector_test_kernelI15HIP_vector_typeIdLj3EELj3ELj16EEvPT_S3_
                                        ; -- End function
	.set _Z18vector_test_kernelI15HIP_vector_typeIdLj3EELj3ELj16EEvPT_S3_.num_vgpr, 9
	.set _Z18vector_test_kernelI15HIP_vector_typeIdLj3EELj3ELj16EEvPT_S3_.num_agpr, 0
	.set _Z18vector_test_kernelI15HIP_vector_typeIdLj3EELj3ELj16EEvPT_S3_.numbered_sgpr, 7
	.set _Z18vector_test_kernelI15HIP_vector_typeIdLj3EELj3ELj16EEvPT_S3_.num_named_barrier, 0
	.set _Z18vector_test_kernelI15HIP_vector_typeIdLj3EELj3ELj16EEvPT_S3_.private_seg_size, 0
	.set _Z18vector_test_kernelI15HIP_vector_typeIdLj3EELj3ELj16EEvPT_S3_.uses_vcc, 0
	.set _Z18vector_test_kernelI15HIP_vector_typeIdLj3EELj3ELj16EEvPT_S3_.uses_flat_scratch, 0
	.set _Z18vector_test_kernelI15HIP_vector_typeIdLj3EELj3ELj16EEvPT_S3_.has_dyn_sized_stack, 0
	.set _Z18vector_test_kernelI15HIP_vector_typeIdLj3EELj3ELj16EEvPT_S3_.has_recursion, 0
	.set _Z18vector_test_kernelI15HIP_vector_typeIdLj3EELj3ELj16EEvPT_S3_.has_indirect_call, 0
	.section	.AMDGPU.csdata,"",@progbits
; Kernel info:
; codeLenInByte = 120
; TotalNumSgprs: 11
; NumVgprs: 9
; ScratchSize: 0
; MemoryBound: 0
; FloatMode: 240
; IeeeMode: 1
; LDSByteSize: 0 bytes/workgroup (compile time only)
; SGPRBlocks: 1
; VGPRBlocks: 2
; NumSGPRsForWavesPerEU: 11
; NumVGPRsForWavesPerEU: 9
; Occupancy: 10
; WaveLimiterHint : 0
; COMPUTE_PGM_RSRC2:SCRATCH_EN: 0
; COMPUTE_PGM_RSRC2:USER_SGPR: 6
; COMPUTE_PGM_RSRC2:TRAP_HANDLER: 0
; COMPUTE_PGM_RSRC2:TGID_X_EN: 1
; COMPUTE_PGM_RSRC2:TGID_Y_EN: 0
; COMPUTE_PGM_RSRC2:TGID_Z_EN: 0
; COMPUTE_PGM_RSRC2:TIDIG_COMP_CNT: 0
	.section	.text._Z18vector_test_kernelI15HIP_vector_typeIfLj3EELj3ELj16EEvPT_S3_,"axG",@progbits,_Z18vector_test_kernelI15HIP_vector_typeIfLj3EELj3ELj16EEvPT_S3_,comdat
	.protected	_Z18vector_test_kernelI15HIP_vector_typeIfLj3EELj3ELj16EEvPT_S3_ ; -- Begin function _Z18vector_test_kernelI15HIP_vector_typeIfLj3EELj3ELj16EEvPT_S3_
	.globl	_Z18vector_test_kernelI15HIP_vector_typeIfLj3EELj3ELj16EEvPT_S3_
	.p2align	8
	.type	_Z18vector_test_kernelI15HIP_vector_typeIfLj3EELj3ELj16EEvPT_S3_,@function
_Z18vector_test_kernelI15HIP_vector_typeIfLj3EELj3ELj16EEvPT_S3_: ; @_Z18vector_test_kernelI15HIP_vector_typeIfLj3EELj3ELj16EEvPT_S3_
; %bb.0:
	s_load_dwordx4 s[0:3], s[4:5], 0x0
	v_lshl_add_u32 v5, s6, 4, v0
	s_waitcnt lgkmcnt(0)
	v_mov_b32_e32 v0, s0
	v_mov_b32_e32 v1, s1
	v_mad_u64_u32 v[0:1], s[0:1], v5, 12, v[0:1]
	v_mov_b32_e32 v3, s2
	v_mov_b32_e32 v4, s3
	global_load_dwordx3 v[0:2], v[0:1], off
	v_mad_u64_u32 v[3:4], s[0:1], v5, 12, v[3:4]
	s_waitcnt vmcnt(0)
	v_sub_f32_e32 v0, v0, v0
	v_sub_f32_e32 v1, v1, v1
	;; [unrolled: 1-line block ×3, first 2 shown]
	global_store_dwordx3 v[3:4], v[0:2], off
	s_endpgm
	.section	.rodata,"a",@progbits
	.p2align	6, 0x0
	.amdhsa_kernel _Z18vector_test_kernelI15HIP_vector_typeIfLj3EELj3ELj16EEvPT_S3_
		.amdhsa_group_segment_fixed_size 0
		.amdhsa_private_segment_fixed_size 0
		.amdhsa_kernarg_size 16
		.amdhsa_user_sgpr_count 6
		.amdhsa_user_sgpr_private_segment_buffer 1
		.amdhsa_user_sgpr_dispatch_ptr 0
		.amdhsa_user_sgpr_queue_ptr 0
		.amdhsa_user_sgpr_kernarg_segment_ptr 1
		.amdhsa_user_sgpr_dispatch_id 0
		.amdhsa_user_sgpr_flat_scratch_init 0
		.amdhsa_user_sgpr_private_segment_size 0
		.amdhsa_uses_dynamic_stack 0
		.amdhsa_system_sgpr_private_segment_wavefront_offset 0
		.amdhsa_system_sgpr_workgroup_id_x 1
		.amdhsa_system_sgpr_workgroup_id_y 0
		.amdhsa_system_sgpr_workgroup_id_z 0
		.amdhsa_system_sgpr_workgroup_info 0
		.amdhsa_system_vgpr_workitem_id 0
		.amdhsa_next_free_vgpr 6
		.amdhsa_next_free_sgpr 7
		.amdhsa_reserve_vcc 0
		.amdhsa_reserve_flat_scratch 0
		.amdhsa_float_round_mode_32 0
		.amdhsa_float_round_mode_16_64 0
		.amdhsa_float_denorm_mode_32 3
		.amdhsa_float_denorm_mode_16_64 3
		.amdhsa_dx10_clamp 1
		.amdhsa_ieee_mode 1
		.amdhsa_fp16_overflow 0
		.amdhsa_exception_fp_ieee_invalid_op 0
		.amdhsa_exception_fp_denorm_src 0
		.amdhsa_exception_fp_ieee_div_zero 0
		.amdhsa_exception_fp_ieee_overflow 0
		.amdhsa_exception_fp_ieee_underflow 0
		.amdhsa_exception_fp_ieee_inexact 0
		.amdhsa_exception_int_div_zero 0
	.end_amdhsa_kernel
	.section	.text._Z18vector_test_kernelI15HIP_vector_typeIfLj3EELj3ELj16EEvPT_S3_,"axG",@progbits,_Z18vector_test_kernelI15HIP_vector_typeIfLj3EELj3ELj16EEvPT_S3_,comdat
.Lfunc_end26:
	.size	_Z18vector_test_kernelI15HIP_vector_typeIfLj3EELj3ELj16EEvPT_S3_, .Lfunc_end26-_Z18vector_test_kernelI15HIP_vector_typeIfLj3EELj3ELj16EEvPT_S3_
                                        ; -- End function
	.set _Z18vector_test_kernelI15HIP_vector_typeIfLj3EELj3ELj16EEvPT_S3_.num_vgpr, 6
	.set _Z18vector_test_kernelI15HIP_vector_typeIfLj3EELj3ELj16EEvPT_S3_.num_agpr, 0
	.set _Z18vector_test_kernelI15HIP_vector_typeIfLj3EELj3ELj16EEvPT_S3_.numbered_sgpr, 7
	.set _Z18vector_test_kernelI15HIP_vector_typeIfLj3EELj3ELj16EEvPT_S3_.num_named_barrier, 0
	.set _Z18vector_test_kernelI15HIP_vector_typeIfLj3EELj3ELj16EEvPT_S3_.private_seg_size, 0
	.set _Z18vector_test_kernelI15HIP_vector_typeIfLj3EELj3ELj16EEvPT_S3_.uses_vcc, 0
	.set _Z18vector_test_kernelI15HIP_vector_typeIfLj3EELj3ELj16EEvPT_S3_.uses_flat_scratch, 0
	.set _Z18vector_test_kernelI15HIP_vector_typeIfLj3EELj3ELj16EEvPT_S3_.has_dyn_sized_stack, 0
	.set _Z18vector_test_kernelI15HIP_vector_typeIfLj3EELj3ELj16EEvPT_S3_.has_recursion, 0
	.set _Z18vector_test_kernelI15HIP_vector_typeIfLj3EELj3ELj16EEvPT_S3_.has_indirect_call, 0
	.section	.AMDGPU.csdata,"",@progbits
; Kernel info:
; codeLenInByte = 88
; TotalNumSgprs: 11
; NumVgprs: 6
; ScratchSize: 0
; MemoryBound: 0
; FloatMode: 240
; IeeeMode: 1
; LDSByteSize: 0 bytes/workgroup (compile time only)
; SGPRBlocks: 1
; VGPRBlocks: 1
; NumSGPRsForWavesPerEU: 11
; NumVGPRsForWavesPerEU: 6
; Occupancy: 10
; WaveLimiterHint : 0
; COMPUTE_PGM_RSRC2:SCRATCH_EN: 0
; COMPUTE_PGM_RSRC2:USER_SGPR: 6
; COMPUTE_PGM_RSRC2:TRAP_HANDLER: 0
; COMPUTE_PGM_RSRC2:TGID_X_EN: 1
; COMPUTE_PGM_RSRC2:TGID_Y_EN: 0
; COMPUTE_PGM_RSRC2:TGID_Z_EN: 0
; COMPUTE_PGM_RSRC2:TIDIG_COMP_CNT: 0
	.section	.text._Z18vector_test_kernelI15HIP_vector_typeIyLj3EELj3ELj16EEvPT_S3_,"axG",@progbits,_Z18vector_test_kernelI15HIP_vector_typeIyLj3EELj3ELj16EEvPT_S3_,comdat
	.protected	_Z18vector_test_kernelI15HIP_vector_typeIyLj3EELj3ELj16EEvPT_S3_ ; -- Begin function _Z18vector_test_kernelI15HIP_vector_typeIyLj3EELj3ELj16EEvPT_S3_
	.globl	_Z18vector_test_kernelI15HIP_vector_typeIyLj3EELj3ELj16EEvPT_S3_
	.p2align	8
	.type	_Z18vector_test_kernelI15HIP_vector_typeIyLj3EELj3ELj16EEvPT_S3_,@function
_Z18vector_test_kernelI15HIP_vector_typeIyLj3EELj3ELj16EEvPT_S3_: ; @_Z18vector_test_kernelI15HIP_vector_typeIyLj3EELj3ELj16EEvPT_S3_
; %bb.0:
	s_load_dwordx2 s[0:1], s[4:5], 0x8
	v_lshl_add_u32 v0, s6, 4, v0
	s_waitcnt lgkmcnt(0)
	v_mad_u64_u32 v[4:5], s[0:1], v0, 24, s[0:1]
	v_mov_b32_e32 v0, 0
	v_mov_b32_e32 v1, v0
	;; [unrolled: 1-line block ×4, first 2 shown]
	global_store_dwordx4 v[4:5], v[0:3], off
	global_store_dwordx2 v[4:5], v[0:1], off offset:16
	s_endpgm
	.section	.rodata,"a",@progbits
	.p2align	6, 0x0
	.amdhsa_kernel _Z18vector_test_kernelI15HIP_vector_typeIyLj3EELj3ELj16EEvPT_S3_
		.amdhsa_group_segment_fixed_size 0
		.amdhsa_private_segment_fixed_size 0
		.amdhsa_kernarg_size 16
		.amdhsa_user_sgpr_count 6
		.amdhsa_user_sgpr_private_segment_buffer 1
		.amdhsa_user_sgpr_dispatch_ptr 0
		.amdhsa_user_sgpr_queue_ptr 0
		.amdhsa_user_sgpr_kernarg_segment_ptr 1
		.amdhsa_user_sgpr_dispatch_id 0
		.amdhsa_user_sgpr_flat_scratch_init 0
		.amdhsa_user_sgpr_private_segment_size 0
		.amdhsa_uses_dynamic_stack 0
		.amdhsa_system_sgpr_private_segment_wavefront_offset 0
		.amdhsa_system_sgpr_workgroup_id_x 1
		.amdhsa_system_sgpr_workgroup_id_y 0
		.amdhsa_system_sgpr_workgroup_id_z 0
		.amdhsa_system_sgpr_workgroup_info 0
		.amdhsa_system_vgpr_workitem_id 0
		.amdhsa_next_free_vgpr 6
		.amdhsa_next_free_sgpr 7
		.amdhsa_reserve_vcc 0
		.amdhsa_reserve_flat_scratch 0
		.amdhsa_float_round_mode_32 0
		.amdhsa_float_round_mode_16_64 0
		.amdhsa_float_denorm_mode_32 3
		.amdhsa_float_denorm_mode_16_64 3
		.amdhsa_dx10_clamp 1
		.amdhsa_ieee_mode 1
		.amdhsa_fp16_overflow 0
		.amdhsa_exception_fp_ieee_invalid_op 0
		.amdhsa_exception_fp_denorm_src 0
		.amdhsa_exception_fp_ieee_div_zero 0
		.amdhsa_exception_fp_ieee_overflow 0
		.amdhsa_exception_fp_ieee_underflow 0
		.amdhsa_exception_fp_ieee_inexact 0
		.amdhsa_exception_int_div_zero 0
	.end_amdhsa_kernel
	.section	.text._Z18vector_test_kernelI15HIP_vector_typeIyLj3EELj3ELj16EEvPT_S3_,"axG",@progbits,_Z18vector_test_kernelI15HIP_vector_typeIyLj3EELj3ELj16EEvPT_S3_,comdat
.Lfunc_end27:
	.size	_Z18vector_test_kernelI15HIP_vector_typeIyLj3EELj3ELj16EEvPT_S3_, .Lfunc_end27-_Z18vector_test_kernelI15HIP_vector_typeIyLj3EELj3ELj16EEvPT_S3_
                                        ; -- End function
	.set _Z18vector_test_kernelI15HIP_vector_typeIyLj3EELj3ELj16EEvPT_S3_.num_vgpr, 6
	.set _Z18vector_test_kernelI15HIP_vector_typeIyLj3EELj3ELj16EEvPT_S3_.num_agpr, 0
	.set _Z18vector_test_kernelI15HIP_vector_typeIyLj3EELj3ELj16EEvPT_S3_.numbered_sgpr, 7
	.set _Z18vector_test_kernelI15HIP_vector_typeIyLj3EELj3ELj16EEvPT_S3_.num_named_barrier, 0
	.set _Z18vector_test_kernelI15HIP_vector_typeIyLj3EELj3ELj16EEvPT_S3_.private_seg_size, 0
	.set _Z18vector_test_kernelI15HIP_vector_typeIyLj3EELj3ELj16EEvPT_S3_.uses_vcc, 0
	.set _Z18vector_test_kernelI15HIP_vector_typeIyLj3EELj3ELj16EEvPT_S3_.uses_flat_scratch, 0
	.set _Z18vector_test_kernelI15HIP_vector_typeIyLj3EELj3ELj16EEvPT_S3_.has_dyn_sized_stack, 0
	.set _Z18vector_test_kernelI15HIP_vector_typeIyLj3EELj3ELj16EEvPT_S3_.has_recursion, 0
	.set _Z18vector_test_kernelI15HIP_vector_typeIyLj3EELj3ELj16EEvPT_S3_.has_indirect_call, 0
	.section	.AMDGPU.csdata,"",@progbits
; Kernel info:
; codeLenInByte = 64
; TotalNumSgprs: 11
; NumVgprs: 6
; ScratchSize: 0
; MemoryBound: 0
; FloatMode: 240
; IeeeMode: 1
; LDSByteSize: 0 bytes/workgroup (compile time only)
; SGPRBlocks: 1
; VGPRBlocks: 1
; NumSGPRsForWavesPerEU: 11
; NumVGPRsForWavesPerEU: 6
; Occupancy: 10
; WaveLimiterHint : 0
; COMPUTE_PGM_RSRC2:SCRATCH_EN: 0
; COMPUTE_PGM_RSRC2:USER_SGPR: 6
; COMPUTE_PGM_RSRC2:TRAP_HANDLER: 0
; COMPUTE_PGM_RSRC2:TGID_X_EN: 1
; COMPUTE_PGM_RSRC2:TGID_Y_EN: 0
; COMPUTE_PGM_RSRC2:TGID_Z_EN: 0
; COMPUTE_PGM_RSRC2:TIDIG_COMP_CNT: 0
	.section	.text._Z18vector_test_kernelI15HIP_vector_typeIxLj3EELj3ELj16EEvPT_S3_,"axG",@progbits,_Z18vector_test_kernelI15HIP_vector_typeIxLj3EELj3ELj16EEvPT_S3_,comdat
	.protected	_Z18vector_test_kernelI15HIP_vector_typeIxLj3EELj3ELj16EEvPT_S3_ ; -- Begin function _Z18vector_test_kernelI15HIP_vector_typeIxLj3EELj3ELj16EEvPT_S3_
	.globl	_Z18vector_test_kernelI15HIP_vector_typeIxLj3EELj3ELj16EEvPT_S3_
	.p2align	8
	.type	_Z18vector_test_kernelI15HIP_vector_typeIxLj3EELj3ELj16EEvPT_S3_,@function
_Z18vector_test_kernelI15HIP_vector_typeIxLj3EELj3ELj16EEvPT_S3_: ; @_Z18vector_test_kernelI15HIP_vector_typeIxLj3EELj3ELj16EEvPT_S3_
; %bb.0:
	s_load_dwordx2 s[0:1], s[4:5], 0x8
	v_lshl_add_u32 v0, s6, 4, v0
	s_waitcnt lgkmcnt(0)
	v_mad_u64_u32 v[4:5], s[0:1], v0, 24, s[0:1]
	v_mov_b32_e32 v0, 0
	v_mov_b32_e32 v1, v0
	;; [unrolled: 1-line block ×4, first 2 shown]
	global_store_dwordx4 v[4:5], v[0:3], off
	global_store_dwordx2 v[4:5], v[0:1], off offset:16
	s_endpgm
	.section	.rodata,"a",@progbits
	.p2align	6, 0x0
	.amdhsa_kernel _Z18vector_test_kernelI15HIP_vector_typeIxLj3EELj3ELj16EEvPT_S3_
		.amdhsa_group_segment_fixed_size 0
		.amdhsa_private_segment_fixed_size 0
		.amdhsa_kernarg_size 16
		.amdhsa_user_sgpr_count 6
		.amdhsa_user_sgpr_private_segment_buffer 1
		.amdhsa_user_sgpr_dispatch_ptr 0
		.amdhsa_user_sgpr_queue_ptr 0
		.amdhsa_user_sgpr_kernarg_segment_ptr 1
		.amdhsa_user_sgpr_dispatch_id 0
		.amdhsa_user_sgpr_flat_scratch_init 0
		.amdhsa_user_sgpr_private_segment_size 0
		.amdhsa_uses_dynamic_stack 0
		.amdhsa_system_sgpr_private_segment_wavefront_offset 0
		.amdhsa_system_sgpr_workgroup_id_x 1
		.amdhsa_system_sgpr_workgroup_id_y 0
		.amdhsa_system_sgpr_workgroup_id_z 0
		.amdhsa_system_sgpr_workgroup_info 0
		.amdhsa_system_vgpr_workitem_id 0
		.amdhsa_next_free_vgpr 6
		.amdhsa_next_free_sgpr 7
		.amdhsa_reserve_vcc 0
		.amdhsa_reserve_flat_scratch 0
		.amdhsa_float_round_mode_32 0
		.amdhsa_float_round_mode_16_64 0
		.amdhsa_float_denorm_mode_32 3
		.amdhsa_float_denorm_mode_16_64 3
		.amdhsa_dx10_clamp 1
		.amdhsa_ieee_mode 1
		.amdhsa_fp16_overflow 0
		.amdhsa_exception_fp_ieee_invalid_op 0
		.amdhsa_exception_fp_denorm_src 0
		.amdhsa_exception_fp_ieee_div_zero 0
		.amdhsa_exception_fp_ieee_overflow 0
		.amdhsa_exception_fp_ieee_underflow 0
		.amdhsa_exception_fp_ieee_inexact 0
		.amdhsa_exception_int_div_zero 0
	.end_amdhsa_kernel
	.section	.text._Z18vector_test_kernelI15HIP_vector_typeIxLj3EELj3ELj16EEvPT_S3_,"axG",@progbits,_Z18vector_test_kernelI15HIP_vector_typeIxLj3EELj3ELj16EEvPT_S3_,comdat
.Lfunc_end28:
	.size	_Z18vector_test_kernelI15HIP_vector_typeIxLj3EELj3ELj16EEvPT_S3_, .Lfunc_end28-_Z18vector_test_kernelI15HIP_vector_typeIxLj3EELj3ELj16EEvPT_S3_
                                        ; -- End function
	.set _Z18vector_test_kernelI15HIP_vector_typeIxLj3EELj3ELj16EEvPT_S3_.num_vgpr, 6
	.set _Z18vector_test_kernelI15HIP_vector_typeIxLj3EELj3ELj16EEvPT_S3_.num_agpr, 0
	.set _Z18vector_test_kernelI15HIP_vector_typeIxLj3EELj3ELj16EEvPT_S3_.numbered_sgpr, 7
	.set _Z18vector_test_kernelI15HIP_vector_typeIxLj3EELj3ELj16EEvPT_S3_.num_named_barrier, 0
	.set _Z18vector_test_kernelI15HIP_vector_typeIxLj3EELj3ELj16EEvPT_S3_.private_seg_size, 0
	.set _Z18vector_test_kernelI15HIP_vector_typeIxLj3EELj3ELj16EEvPT_S3_.uses_vcc, 0
	.set _Z18vector_test_kernelI15HIP_vector_typeIxLj3EELj3ELj16EEvPT_S3_.uses_flat_scratch, 0
	.set _Z18vector_test_kernelI15HIP_vector_typeIxLj3EELj3ELj16EEvPT_S3_.has_dyn_sized_stack, 0
	.set _Z18vector_test_kernelI15HIP_vector_typeIxLj3EELj3ELj16EEvPT_S3_.has_recursion, 0
	.set _Z18vector_test_kernelI15HIP_vector_typeIxLj3EELj3ELj16EEvPT_S3_.has_indirect_call, 0
	.section	.AMDGPU.csdata,"",@progbits
; Kernel info:
; codeLenInByte = 64
; TotalNumSgprs: 11
; NumVgprs: 6
; ScratchSize: 0
; MemoryBound: 0
; FloatMode: 240
; IeeeMode: 1
; LDSByteSize: 0 bytes/workgroup (compile time only)
; SGPRBlocks: 1
; VGPRBlocks: 1
; NumSGPRsForWavesPerEU: 11
; NumVGPRsForWavesPerEU: 6
; Occupancy: 10
; WaveLimiterHint : 0
; COMPUTE_PGM_RSRC2:SCRATCH_EN: 0
; COMPUTE_PGM_RSRC2:USER_SGPR: 6
; COMPUTE_PGM_RSRC2:TRAP_HANDLER: 0
; COMPUTE_PGM_RSRC2:TGID_X_EN: 1
; COMPUTE_PGM_RSRC2:TGID_Y_EN: 0
; COMPUTE_PGM_RSRC2:TGID_Z_EN: 0
; COMPUTE_PGM_RSRC2:TIDIG_COMP_CNT: 0
	.section	.text._Z18vector_test_kernelI15HIP_vector_typeImLj3EELj3ELj16EEvPT_S3_,"axG",@progbits,_Z18vector_test_kernelI15HIP_vector_typeImLj3EELj3ELj16EEvPT_S3_,comdat
	.protected	_Z18vector_test_kernelI15HIP_vector_typeImLj3EELj3ELj16EEvPT_S3_ ; -- Begin function _Z18vector_test_kernelI15HIP_vector_typeImLj3EELj3ELj16EEvPT_S3_
	.globl	_Z18vector_test_kernelI15HIP_vector_typeImLj3EELj3ELj16EEvPT_S3_
	.p2align	8
	.type	_Z18vector_test_kernelI15HIP_vector_typeImLj3EELj3ELj16EEvPT_S3_,@function
_Z18vector_test_kernelI15HIP_vector_typeImLj3EELj3ELj16EEvPT_S3_: ; @_Z18vector_test_kernelI15HIP_vector_typeImLj3EELj3ELj16EEvPT_S3_
; %bb.0:
	s_load_dwordx2 s[0:1], s[4:5], 0x8
	v_lshl_add_u32 v0, s6, 4, v0
	s_waitcnt lgkmcnt(0)
	v_mad_u64_u32 v[4:5], s[0:1], v0, 24, s[0:1]
	v_mov_b32_e32 v0, 0
	v_mov_b32_e32 v1, v0
	;; [unrolled: 1-line block ×4, first 2 shown]
	global_store_dwordx4 v[4:5], v[0:3], off
	global_store_dwordx2 v[4:5], v[0:1], off offset:16
	s_endpgm
	.section	.rodata,"a",@progbits
	.p2align	6, 0x0
	.amdhsa_kernel _Z18vector_test_kernelI15HIP_vector_typeImLj3EELj3ELj16EEvPT_S3_
		.amdhsa_group_segment_fixed_size 0
		.amdhsa_private_segment_fixed_size 0
		.amdhsa_kernarg_size 16
		.amdhsa_user_sgpr_count 6
		.amdhsa_user_sgpr_private_segment_buffer 1
		.amdhsa_user_sgpr_dispatch_ptr 0
		.amdhsa_user_sgpr_queue_ptr 0
		.amdhsa_user_sgpr_kernarg_segment_ptr 1
		.amdhsa_user_sgpr_dispatch_id 0
		.amdhsa_user_sgpr_flat_scratch_init 0
		.amdhsa_user_sgpr_private_segment_size 0
		.amdhsa_uses_dynamic_stack 0
		.amdhsa_system_sgpr_private_segment_wavefront_offset 0
		.amdhsa_system_sgpr_workgroup_id_x 1
		.amdhsa_system_sgpr_workgroup_id_y 0
		.amdhsa_system_sgpr_workgroup_id_z 0
		.amdhsa_system_sgpr_workgroup_info 0
		.amdhsa_system_vgpr_workitem_id 0
		.amdhsa_next_free_vgpr 6
		.amdhsa_next_free_sgpr 7
		.amdhsa_reserve_vcc 0
		.amdhsa_reserve_flat_scratch 0
		.amdhsa_float_round_mode_32 0
		.amdhsa_float_round_mode_16_64 0
		.amdhsa_float_denorm_mode_32 3
		.amdhsa_float_denorm_mode_16_64 3
		.amdhsa_dx10_clamp 1
		.amdhsa_ieee_mode 1
		.amdhsa_fp16_overflow 0
		.amdhsa_exception_fp_ieee_invalid_op 0
		.amdhsa_exception_fp_denorm_src 0
		.amdhsa_exception_fp_ieee_div_zero 0
		.amdhsa_exception_fp_ieee_overflow 0
		.amdhsa_exception_fp_ieee_underflow 0
		.amdhsa_exception_fp_ieee_inexact 0
		.amdhsa_exception_int_div_zero 0
	.end_amdhsa_kernel
	.section	.text._Z18vector_test_kernelI15HIP_vector_typeImLj3EELj3ELj16EEvPT_S3_,"axG",@progbits,_Z18vector_test_kernelI15HIP_vector_typeImLj3EELj3ELj16EEvPT_S3_,comdat
.Lfunc_end29:
	.size	_Z18vector_test_kernelI15HIP_vector_typeImLj3EELj3ELj16EEvPT_S3_, .Lfunc_end29-_Z18vector_test_kernelI15HIP_vector_typeImLj3EELj3ELj16EEvPT_S3_
                                        ; -- End function
	.set _Z18vector_test_kernelI15HIP_vector_typeImLj3EELj3ELj16EEvPT_S3_.num_vgpr, 6
	.set _Z18vector_test_kernelI15HIP_vector_typeImLj3EELj3ELj16EEvPT_S3_.num_agpr, 0
	.set _Z18vector_test_kernelI15HIP_vector_typeImLj3EELj3ELj16EEvPT_S3_.numbered_sgpr, 7
	.set _Z18vector_test_kernelI15HIP_vector_typeImLj3EELj3ELj16EEvPT_S3_.num_named_barrier, 0
	.set _Z18vector_test_kernelI15HIP_vector_typeImLj3EELj3ELj16EEvPT_S3_.private_seg_size, 0
	.set _Z18vector_test_kernelI15HIP_vector_typeImLj3EELj3ELj16EEvPT_S3_.uses_vcc, 0
	.set _Z18vector_test_kernelI15HIP_vector_typeImLj3EELj3ELj16EEvPT_S3_.uses_flat_scratch, 0
	.set _Z18vector_test_kernelI15HIP_vector_typeImLj3EELj3ELj16EEvPT_S3_.has_dyn_sized_stack, 0
	.set _Z18vector_test_kernelI15HIP_vector_typeImLj3EELj3ELj16EEvPT_S3_.has_recursion, 0
	.set _Z18vector_test_kernelI15HIP_vector_typeImLj3EELj3ELj16EEvPT_S3_.has_indirect_call, 0
	.section	.AMDGPU.csdata,"",@progbits
; Kernel info:
; codeLenInByte = 64
; TotalNumSgprs: 11
; NumVgprs: 6
; ScratchSize: 0
; MemoryBound: 0
; FloatMode: 240
; IeeeMode: 1
; LDSByteSize: 0 bytes/workgroup (compile time only)
; SGPRBlocks: 1
; VGPRBlocks: 1
; NumSGPRsForWavesPerEU: 11
; NumVGPRsForWavesPerEU: 6
; Occupancy: 10
; WaveLimiterHint : 0
; COMPUTE_PGM_RSRC2:SCRATCH_EN: 0
; COMPUTE_PGM_RSRC2:USER_SGPR: 6
; COMPUTE_PGM_RSRC2:TRAP_HANDLER: 0
; COMPUTE_PGM_RSRC2:TGID_X_EN: 1
; COMPUTE_PGM_RSRC2:TGID_Y_EN: 0
; COMPUTE_PGM_RSRC2:TGID_Z_EN: 0
; COMPUTE_PGM_RSRC2:TIDIG_COMP_CNT: 0
	.section	.text._Z18vector_test_kernelI15HIP_vector_typeIlLj3EELj3ELj16EEvPT_S3_,"axG",@progbits,_Z18vector_test_kernelI15HIP_vector_typeIlLj3EELj3ELj16EEvPT_S3_,comdat
	.protected	_Z18vector_test_kernelI15HIP_vector_typeIlLj3EELj3ELj16EEvPT_S3_ ; -- Begin function _Z18vector_test_kernelI15HIP_vector_typeIlLj3EELj3ELj16EEvPT_S3_
	.globl	_Z18vector_test_kernelI15HIP_vector_typeIlLj3EELj3ELj16EEvPT_S3_
	.p2align	8
	.type	_Z18vector_test_kernelI15HIP_vector_typeIlLj3EELj3ELj16EEvPT_S3_,@function
_Z18vector_test_kernelI15HIP_vector_typeIlLj3EELj3ELj16EEvPT_S3_: ; @_Z18vector_test_kernelI15HIP_vector_typeIlLj3EELj3ELj16EEvPT_S3_
; %bb.0:
	s_load_dwordx2 s[0:1], s[4:5], 0x8
	v_lshl_add_u32 v0, s6, 4, v0
	s_waitcnt lgkmcnt(0)
	v_mad_u64_u32 v[4:5], s[0:1], v0, 24, s[0:1]
	v_mov_b32_e32 v0, 0
	v_mov_b32_e32 v1, v0
	;; [unrolled: 1-line block ×4, first 2 shown]
	global_store_dwordx4 v[4:5], v[0:3], off
	global_store_dwordx2 v[4:5], v[0:1], off offset:16
	s_endpgm
	.section	.rodata,"a",@progbits
	.p2align	6, 0x0
	.amdhsa_kernel _Z18vector_test_kernelI15HIP_vector_typeIlLj3EELj3ELj16EEvPT_S3_
		.amdhsa_group_segment_fixed_size 0
		.amdhsa_private_segment_fixed_size 0
		.amdhsa_kernarg_size 16
		.amdhsa_user_sgpr_count 6
		.amdhsa_user_sgpr_private_segment_buffer 1
		.amdhsa_user_sgpr_dispatch_ptr 0
		.amdhsa_user_sgpr_queue_ptr 0
		.amdhsa_user_sgpr_kernarg_segment_ptr 1
		.amdhsa_user_sgpr_dispatch_id 0
		.amdhsa_user_sgpr_flat_scratch_init 0
		.amdhsa_user_sgpr_private_segment_size 0
		.amdhsa_uses_dynamic_stack 0
		.amdhsa_system_sgpr_private_segment_wavefront_offset 0
		.amdhsa_system_sgpr_workgroup_id_x 1
		.amdhsa_system_sgpr_workgroup_id_y 0
		.amdhsa_system_sgpr_workgroup_id_z 0
		.amdhsa_system_sgpr_workgroup_info 0
		.amdhsa_system_vgpr_workitem_id 0
		.amdhsa_next_free_vgpr 6
		.amdhsa_next_free_sgpr 7
		.amdhsa_reserve_vcc 0
		.amdhsa_reserve_flat_scratch 0
		.amdhsa_float_round_mode_32 0
		.amdhsa_float_round_mode_16_64 0
		.amdhsa_float_denorm_mode_32 3
		.amdhsa_float_denorm_mode_16_64 3
		.amdhsa_dx10_clamp 1
		.amdhsa_ieee_mode 1
		.amdhsa_fp16_overflow 0
		.amdhsa_exception_fp_ieee_invalid_op 0
		.amdhsa_exception_fp_denorm_src 0
		.amdhsa_exception_fp_ieee_div_zero 0
		.amdhsa_exception_fp_ieee_overflow 0
		.amdhsa_exception_fp_ieee_underflow 0
		.amdhsa_exception_fp_ieee_inexact 0
		.amdhsa_exception_int_div_zero 0
	.end_amdhsa_kernel
	.section	.text._Z18vector_test_kernelI15HIP_vector_typeIlLj3EELj3ELj16EEvPT_S3_,"axG",@progbits,_Z18vector_test_kernelI15HIP_vector_typeIlLj3EELj3ELj16EEvPT_S3_,comdat
.Lfunc_end30:
	.size	_Z18vector_test_kernelI15HIP_vector_typeIlLj3EELj3ELj16EEvPT_S3_, .Lfunc_end30-_Z18vector_test_kernelI15HIP_vector_typeIlLj3EELj3ELj16EEvPT_S3_
                                        ; -- End function
	.set _Z18vector_test_kernelI15HIP_vector_typeIlLj3EELj3ELj16EEvPT_S3_.num_vgpr, 6
	.set _Z18vector_test_kernelI15HIP_vector_typeIlLj3EELj3ELj16EEvPT_S3_.num_agpr, 0
	.set _Z18vector_test_kernelI15HIP_vector_typeIlLj3EELj3ELj16EEvPT_S3_.numbered_sgpr, 7
	.set _Z18vector_test_kernelI15HIP_vector_typeIlLj3EELj3ELj16EEvPT_S3_.num_named_barrier, 0
	.set _Z18vector_test_kernelI15HIP_vector_typeIlLj3EELj3ELj16EEvPT_S3_.private_seg_size, 0
	.set _Z18vector_test_kernelI15HIP_vector_typeIlLj3EELj3ELj16EEvPT_S3_.uses_vcc, 0
	.set _Z18vector_test_kernelI15HIP_vector_typeIlLj3EELj3ELj16EEvPT_S3_.uses_flat_scratch, 0
	.set _Z18vector_test_kernelI15HIP_vector_typeIlLj3EELj3ELj16EEvPT_S3_.has_dyn_sized_stack, 0
	.set _Z18vector_test_kernelI15HIP_vector_typeIlLj3EELj3ELj16EEvPT_S3_.has_recursion, 0
	.set _Z18vector_test_kernelI15HIP_vector_typeIlLj3EELj3ELj16EEvPT_S3_.has_indirect_call, 0
	.section	.AMDGPU.csdata,"",@progbits
; Kernel info:
; codeLenInByte = 64
; TotalNumSgprs: 11
; NumVgprs: 6
; ScratchSize: 0
; MemoryBound: 0
; FloatMode: 240
; IeeeMode: 1
; LDSByteSize: 0 bytes/workgroup (compile time only)
; SGPRBlocks: 1
; VGPRBlocks: 1
; NumSGPRsForWavesPerEU: 11
; NumVGPRsForWavesPerEU: 6
; Occupancy: 10
; WaveLimiterHint : 0
; COMPUTE_PGM_RSRC2:SCRATCH_EN: 0
; COMPUTE_PGM_RSRC2:USER_SGPR: 6
; COMPUTE_PGM_RSRC2:TRAP_HANDLER: 0
; COMPUTE_PGM_RSRC2:TGID_X_EN: 1
; COMPUTE_PGM_RSRC2:TGID_Y_EN: 0
; COMPUTE_PGM_RSRC2:TGID_Z_EN: 0
; COMPUTE_PGM_RSRC2:TIDIG_COMP_CNT: 0
	.section	.text._Z18vector_test_kernelI15HIP_vector_typeIjLj3EELj3ELj16EEvPT_S3_,"axG",@progbits,_Z18vector_test_kernelI15HIP_vector_typeIjLj3EELj3ELj16EEvPT_S3_,comdat
	.protected	_Z18vector_test_kernelI15HIP_vector_typeIjLj3EELj3ELj16EEvPT_S3_ ; -- Begin function _Z18vector_test_kernelI15HIP_vector_typeIjLj3EELj3ELj16EEvPT_S3_
	.globl	_Z18vector_test_kernelI15HIP_vector_typeIjLj3EELj3ELj16EEvPT_S3_
	.p2align	8
	.type	_Z18vector_test_kernelI15HIP_vector_typeIjLj3EELj3ELj16EEvPT_S3_,@function
_Z18vector_test_kernelI15HIP_vector_typeIjLj3EELj3ELj16EEvPT_S3_: ; @_Z18vector_test_kernelI15HIP_vector_typeIjLj3EELj3ELj16EEvPT_S3_
; %bb.0:
	s_load_dwordx2 s[0:1], s[4:5], 0x8
	v_lshl_add_u32 v0, s6, 4, v0
	s_waitcnt lgkmcnt(0)
	v_mad_u64_u32 v[3:4], s[0:1], v0, 12, s[0:1]
	v_mov_b32_e32 v0, 0
	v_mov_b32_e32 v1, v0
	;; [unrolled: 1-line block ×3, first 2 shown]
	global_store_dwordx3 v[3:4], v[0:2], off
	s_endpgm
	.section	.rodata,"a",@progbits
	.p2align	6, 0x0
	.amdhsa_kernel _Z18vector_test_kernelI15HIP_vector_typeIjLj3EELj3ELj16EEvPT_S3_
		.amdhsa_group_segment_fixed_size 0
		.amdhsa_private_segment_fixed_size 0
		.amdhsa_kernarg_size 16
		.amdhsa_user_sgpr_count 6
		.amdhsa_user_sgpr_private_segment_buffer 1
		.amdhsa_user_sgpr_dispatch_ptr 0
		.amdhsa_user_sgpr_queue_ptr 0
		.amdhsa_user_sgpr_kernarg_segment_ptr 1
		.amdhsa_user_sgpr_dispatch_id 0
		.amdhsa_user_sgpr_flat_scratch_init 0
		.amdhsa_user_sgpr_private_segment_size 0
		.amdhsa_uses_dynamic_stack 0
		.amdhsa_system_sgpr_private_segment_wavefront_offset 0
		.amdhsa_system_sgpr_workgroup_id_x 1
		.amdhsa_system_sgpr_workgroup_id_y 0
		.amdhsa_system_sgpr_workgroup_id_z 0
		.amdhsa_system_sgpr_workgroup_info 0
		.amdhsa_system_vgpr_workitem_id 0
		.amdhsa_next_free_vgpr 5
		.amdhsa_next_free_sgpr 7
		.amdhsa_reserve_vcc 0
		.amdhsa_reserve_flat_scratch 0
		.amdhsa_float_round_mode_32 0
		.amdhsa_float_round_mode_16_64 0
		.amdhsa_float_denorm_mode_32 3
		.amdhsa_float_denorm_mode_16_64 3
		.amdhsa_dx10_clamp 1
		.amdhsa_ieee_mode 1
		.amdhsa_fp16_overflow 0
		.amdhsa_exception_fp_ieee_invalid_op 0
		.amdhsa_exception_fp_denorm_src 0
		.amdhsa_exception_fp_ieee_div_zero 0
		.amdhsa_exception_fp_ieee_overflow 0
		.amdhsa_exception_fp_ieee_underflow 0
		.amdhsa_exception_fp_ieee_inexact 0
		.amdhsa_exception_int_div_zero 0
	.end_amdhsa_kernel
	.section	.text._Z18vector_test_kernelI15HIP_vector_typeIjLj3EELj3ELj16EEvPT_S3_,"axG",@progbits,_Z18vector_test_kernelI15HIP_vector_typeIjLj3EELj3ELj16EEvPT_S3_,comdat
.Lfunc_end31:
	.size	_Z18vector_test_kernelI15HIP_vector_typeIjLj3EELj3ELj16EEvPT_S3_, .Lfunc_end31-_Z18vector_test_kernelI15HIP_vector_typeIjLj3EELj3ELj16EEvPT_S3_
                                        ; -- End function
	.set _Z18vector_test_kernelI15HIP_vector_typeIjLj3EELj3ELj16EEvPT_S3_.num_vgpr, 5
	.set _Z18vector_test_kernelI15HIP_vector_typeIjLj3EELj3ELj16EEvPT_S3_.num_agpr, 0
	.set _Z18vector_test_kernelI15HIP_vector_typeIjLj3EELj3ELj16EEvPT_S3_.numbered_sgpr, 7
	.set _Z18vector_test_kernelI15HIP_vector_typeIjLj3EELj3ELj16EEvPT_S3_.num_named_barrier, 0
	.set _Z18vector_test_kernelI15HIP_vector_typeIjLj3EELj3ELj16EEvPT_S3_.private_seg_size, 0
	.set _Z18vector_test_kernelI15HIP_vector_typeIjLj3EELj3ELj16EEvPT_S3_.uses_vcc, 0
	.set _Z18vector_test_kernelI15HIP_vector_typeIjLj3EELj3ELj16EEvPT_S3_.uses_flat_scratch, 0
	.set _Z18vector_test_kernelI15HIP_vector_typeIjLj3EELj3ELj16EEvPT_S3_.has_dyn_sized_stack, 0
	.set _Z18vector_test_kernelI15HIP_vector_typeIjLj3EELj3ELj16EEvPT_S3_.has_recursion, 0
	.set _Z18vector_test_kernelI15HIP_vector_typeIjLj3EELj3ELj16EEvPT_S3_.has_indirect_call, 0
	.section	.AMDGPU.csdata,"",@progbits
; Kernel info:
; codeLenInByte = 52
; TotalNumSgprs: 11
; NumVgprs: 5
; ScratchSize: 0
; MemoryBound: 0
; FloatMode: 240
; IeeeMode: 1
; LDSByteSize: 0 bytes/workgroup (compile time only)
; SGPRBlocks: 1
; VGPRBlocks: 1
; NumSGPRsForWavesPerEU: 11
; NumVGPRsForWavesPerEU: 5
; Occupancy: 10
; WaveLimiterHint : 0
; COMPUTE_PGM_RSRC2:SCRATCH_EN: 0
; COMPUTE_PGM_RSRC2:USER_SGPR: 6
; COMPUTE_PGM_RSRC2:TRAP_HANDLER: 0
; COMPUTE_PGM_RSRC2:TGID_X_EN: 1
; COMPUTE_PGM_RSRC2:TGID_Y_EN: 0
; COMPUTE_PGM_RSRC2:TGID_Z_EN: 0
; COMPUTE_PGM_RSRC2:TIDIG_COMP_CNT: 0
	.section	.text._Z18vector_test_kernelI15HIP_vector_typeIiLj3EELj3ELj16EEvPT_S3_,"axG",@progbits,_Z18vector_test_kernelI15HIP_vector_typeIiLj3EELj3ELj16EEvPT_S3_,comdat
	.protected	_Z18vector_test_kernelI15HIP_vector_typeIiLj3EELj3ELj16EEvPT_S3_ ; -- Begin function _Z18vector_test_kernelI15HIP_vector_typeIiLj3EELj3ELj16EEvPT_S3_
	.globl	_Z18vector_test_kernelI15HIP_vector_typeIiLj3EELj3ELj16EEvPT_S3_
	.p2align	8
	.type	_Z18vector_test_kernelI15HIP_vector_typeIiLj3EELj3ELj16EEvPT_S3_,@function
_Z18vector_test_kernelI15HIP_vector_typeIiLj3EELj3ELj16EEvPT_S3_: ; @_Z18vector_test_kernelI15HIP_vector_typeIiLj3EELj3ELj16EEvPT_S3_
; %bb.0:
	s_load_dwordx2 s[0:1], s[4:5], 0x8
	v_lshl_add_u32 v0, s6, 4, v0
	s_waitcnt lgkmcnt(0)
	v_mad_u64_u32 v[3:4], s[0:1], v0, 12, s[0:1]
	v_mov_b32_e32 v0, 0
	v_mov_b32_e32 v1, v0
	;; [unrolled: 1-line block ×3, first 2 shown]
	global_store_dwordx3 v[3:4], v[0:2], off
	s_endpgm
	.section	.rodata,"a",@progbits
	.p2align	6, 0x0
	.amdhsa_kernel _Z18vector_test_kernelI15HIP_vector_typeIiLj3EELj3ELj16EEvPT_S3_
		.amdhsa_group_segment_fixed_size 0
		.amdhsa_private_segment_fixed_size 0
		.amdhsa_kernarg_size 16
		.amdhsa_user_sgpr_count 6
		.amdhsa_user_sgpr_private_segment_buffer 1
		.amdhsa_user_sgpr_dispatch_ptr 0
		.amdhsa_user_sgpr_queue_ptr 0
		.amdhsa_user_sgpr_kernarg_segment_ptr 1
		.amdhsa_user_sgpr_dispatch_id 0
		.amdhsa_user_sgpr_flat_scratch_init 0
		.amdhsa_user_sgpr_private_segment_size 0
		.amdhsa_uses_dynamic_stack 0
		.amdhsa_system_sgpr_private_segment_wavefront_offset 0
		.amdhsa_system_sgpr_workgroup_id_x 1
		.amdhsa_system_sgpr_workgroup_id_y 0
		.amdhsa_system_sgpr_workgroup_id_z 0
		.amdhsa_system_sgpr_workgroup_info 0
		.amdhsa_system_vgpr_workitem_id 0
		.amdhsa_next_free_vgpr 5
		.amdhsa_next_free_sgpr 7
		.amdhsa_reserve_vcc 0
		.amdhsa_reserve_flat_scratch 0
		.amdhsa_float_round_mode_32 0
		.amdhsa_float_round_mode_16_64 0
		.amdhsa_float_denorm_mode_32 3
		.amdhsa_float_denorm_mode_16_64 3
		.amdhsa_dx10_clamp 1
		.amdhsa_ieee_mode 1
		.amdhsa_fp16_overflow 0
		.amdhsa_exception_fp_ieee_invalid_op 0
		.amdhsa_exception_fp_denorm_src 0
		.amdhsa_exception_fp_ieee_div_zero 0
		.amdhsa_exception_fp_ieee_overflow 0
		.amdhsa_exception_fp_ieee_underflow 0
		.amdhsa_exception_fp_ieee_inexact 0
		.amdhsa_exception_int_div_zero 0
	.end_amdhsa_kernel
	.section	.text._Z18vector_test_kernelI15HIP_vector_typeIiLj3EELj3ELj16EEvPT_S3_,"axG",@progbits,_Z18vector_test_kernelI15HIP_vector_typeIiLj3EELj3ELj16EEvPT_S3_,comdat
.Lfunc_end32:
	.size	_Z18vector_test_kernelI15HIP_vector_typeIiLj3EELj3ELj16EEvPT_S3_, .Lfunc_end32-_Z18vector_test_kernelI15HIP_vector_typeIiLj3EELj3ELj16EEvPT_S3_
                                        ; -- End function
	.set _Z18vector_test_kernelI15HIP_vector_typeIiLj3EELj3ELj16EEvPT_S3_.num_vgpr, 5
	.set _Z18vector_test_kernelI15HIP_vector_typeIiLj3EELj3ELj16EEvPT_S3_.num_agpr, 0
	.set _Z18vector_test_kernelI15HIP_vector_typeIiLj3EELj3ELj16EEvPT_S3_.numbered_sgpr, 7
	.set _Z18vector_test_kernelI15HIP_vector_typeIiLj3EELj3ELj16EEvPT_S3_.num_named_barrier, 0
	.set _Z18vector_test_kernelI15HIP_vector_typeIiLj3EELj3ELj16EEvPT_S3_.private_seg_size, 0
	.set _Z18vector_test_kernelI15HIP_vector_typeIiLj3EELj3ELj16EEvPT_S3_.uses_vcc, 0
	.set _Z18vector_test_kernelI15HIP_vector_typeIiLj3EELj3ELj16EEvPT_S3_.uses_flat_scratch, 0
	.set _Z18vector_test_kernelI15HIP_vector_typeIiLj3EELj3ELj16EEvPT_S3_.has_dyn_sized_stack, 0
	.set _Z18vector_test_kernelI15HIP_vector_typeIiLj3EELj3ELj16EEvPT_S3_.has_recursion, 0
	.set _Z18vector_test_kernelI15HIP_vector_typeIiLj3EELj3ELj16EEvPT_S3_.has_indirect_call, 0
	.section	.AMDGPU.csdata,"",@progbits
; Kernel info:
; codeLenInByte = 52
; TotalNumSgprs: 11
; NumVgprs: 5
; ScratchSize: 0
; MemoryBound: 0
; FloatMode: 240
; IeeeMode: 1
; LDSByteSize: 0 bytes/workgroup (compile time only)
; SGPRBlocks: 1
; VGPRBlocks: 1
; NumSGPRsForWavesPerEU: 11
; NumVGPRsForWavesPerEU: 5
; Occupancy: 10
; WaveLimiterHint : 0
; COMPUTE_PGM_RSRC2:SCRATCH_EN: 0
; COMPUTE_PGM_RSRC2:USER_SGPR: 6
; COMPUTE_PGM_RSRC2:TRAP_HANDLER: 0
; COMPUTE_PGM_RSRC2:TGID_X_EN: 1
; COMPUTE_PGM_RSRC2:TGID_Y_EN: 0
; COMPUTE_PGM_RSRC2:TGID_Z_EN: 0
; COMPUTE_PGM_RSRC2:TIDIG_COMP_CNT: 0
	.section	.text._Z18vector_test_kernelI15HIP_vector_typeItLj3EELj3ELj16EEvPT_S3_,"axG",@progbits,_Z18vector_test_kernelI15HIP_vector_typeItLj3EELj3ELj16EEvPT_S3_,comdat
	.protected	_Z18vector_test_kernelI15HIP_vector_typeItLj3EELj3ELj16EEvPT_S3_ ; -- Begin function _Z18vector_test_kernelI15HIP_vector_typeItLj3EELj3ELj16EEvPT_S3_
	.globl	_Z18vector_test_kernelI15HIP_vector_typeItLj3EELj3ELj16EEvPT_S3_
	.p2align	8
	.type	_Z18vector_test_kernelI15HIP_vector_typeItLj3EELj3ELj16EEvPT_S3_,@function
_Z18vector_test_kernelI15HIP_vector_typeItLj3EELj3ELj16EEvPT_S3_: ; @_Z18vector_test_kernelI15HIP_vector_typeItLj3EELj3ELj16EEvPT_S3_
; %bb.0:
	s_load_dwordx2 s[0:1], s[4:5], 0x8
	v_lshl_add_u32 v0, s6, 4, v0
	v_mov_b32_e32 v2, 0
	s_waitcnt lgkmcnt(0)
	v_mad_u64_u32 v[0:1], s[0:1], v0, 6, s[0:1]
	global_store_dword v[0:1], v2, off
	global_store_short v[0:1], v2, off offset:4
	s_endpgm
	.section	.rodata,"a",@progbits
	.p2align	6, 0x0
	.amdhsa_kernel _Z18vector_test_kernelI15HIP_vector_typeItLj3EELj3ELj16EEvPT_S3_
		.amdhsa_group_segment_fixed_size 0
		.amdhsa_private_segment_fixed_size 0
		.amdhsa_kernarg_size 16
		.amdhsa_user_sgpr_count 6
		.amdhsa_user_sgpr_private_segment_buffer 1
		.amdhsa_user_sgpr_dispatch_ptr 0
		.amdhsa_user_sgpr_queue_ptr 0
		.amdhsa_user_sgpr_kernarg_segment_ptr 1
		.amdhsa_user_sgpr_dispatch_id 0
		.amdhsa_user_sgpr_flat_scratch_init 0
		.amdhsa_user_sgpr_private_segment_size 0
		.amdhsa_uses_dynamic_stack 0
		.amdhsa_system_sgpr_private_segment_wavefront_offset 0
		.amdhsa_system_sgpr_workgroup_id_x 1
		.amdhsa_system_sgpr_workgroup_id_y 0
		.amdhsa_system_sgpr_workgroup_id_z 0
		.amdhsa_system_sgpr_workgroup_info 0
		.amdhsa_system_vgpr_workitem_id 0
		.amdhsa_next_free_vgpr 3
		.amdhsa_next_free_sgpr 7
		.amdhsa_reserve_vcc 0
		.amdhsa_reserve_flat_scratch 0
		.amdhsa_float_round_mode_32 0
		.amdhsa_float_round_mode_16_64 0
		.amdhsa_float_denorm_mode_32 3
		.amdhsa_float_denorm_mode_16_64 3
		.amdhsa_dx10_clamp 1
		.amdhsa_ieee_mode 1
		.amdhsa_fp16_overflow 0
		.amdhsa_exception_fp_ieee_invalid_op 0
		.amdhsa_exception_fp_denorm_src 0
		.amdhsa_exception_fp_ieee_div_zero 0
		.amdhsa_exception_fp_ieee_overflow 0
		.amdhsa_exception_fp_ieee_underflow 0
		.amdhsa_exception_fp_ieee_inexact 0
		.amdhsa_exception_int_div_zero 0
	.end_amdhsa_kernel
	.section	.text._Z18vector_test_kernelI15HIP_vector_typeItLj3EELj3ELj16EEvPT_S3_,"axG",@progbits,_Z18vector_test_kernelI15HIP_vector_typeItLj3EELj3ELj16EEvPT_S3_,comdat
.Lfunc_end33:
	.size	_Z18vector_test_kernelI15HIP_vector_typeItLj3EELj3ELj16EEvPT_S3_, .Lfunc_end33-_Z18vector_test_kernelI15HIP_vector_typeItLj3EELj3ELj16EEvPT_S3_
                                        ; -- End function
	.set _Z18vector_test_kernelI15HIP_vector_typeItLj3EELj3ELj16EEvPT_S3_.num_vgpr, 3
	.set _Z18vector_test_kernelI15HIP_vector_typeItLj3EELj3ELj16EEvPT_S3_.num_agpr, 0
	.set _Z18vector_test_kernelI15HIP_vector_typeItLj3EELj3ELj16EEvPT_S3_.numbered_sgpr, 7
	.set _Z18vector_test_kernelI15HIP_vector_typeItLj3EELj3ELj16EEvPT_S3_.num_named_barrier, 0
	.set _Z18vector_test_kernelI15HIP_vector_typeItLj3EELj3ELj16EEvPT_S3_.private_seg_size, 0
	.set _Z18vector_test_kernelI15HIP_vector_typeItLj3EELj3ELj16EEvPT_S3_.uses_vcc, 0
	.set _Z18vector_test_kernelI15HIP_vector_typeItLj3EELj3ELj16EEvPT_S3_.uses_flat_scratch, 0
	.set _Z18vector_test_kernelI15HIP_vector_typeItLj3EELj3ELj16EEvPT_S3_.has_dyn_sized_stack, 0
	.set _Z18vector_test_kernelI15HIP_vector_typeItLj3EELj3ELj16EEvPT_S3_.has_recursion, 0
	.set _Z18vector_test_kernelI15HIP_vector_typeItLj3EELj3ELj16EEvPT_S3_.has_indirect_call, 0
	.section	.AMDGPU.csdata,"",@progbits
; Kernel info:
; codeLenInByte = 52
; TotalNumSgprs: 11
; NumVgprs: 3
; ScratchSize: 0
; MemoryBound: 0
; FloatMode: 240
; IeeeMode: 1
; LDSByteSize: 0 bytes/workgroup (compile time only)
; SGPRBlocks: 1
; VGPRBlocks: 0
; NumSGPRsForWavesPerEU: 11
; NumVGPRsForWavesPerEU: 3
; Occupancy: 10
; WaveLimiterHint : 0
; COMPUTE_PGM_RSRC2:SCRATCH_EN: 0
; COMPUTE_PGM_RSRC2:USER_SGPR: 6
; COMPUTE_PGM_RSRC2:TRAP_HANDLER: 0
; COMPUTE_PGM_RSRC2:TGID_X_EN: 1
; COMPUTE_PGM_RSRC2:TGID_Y_EN: 0
; COMPUTE_PGM_RSRC2:TGID_Z_EN: 0
; COMPUTE_PGM_RSRC2:TIDIG_COMP_CNT: 0
	.section	.text._Z18vector_test_kernelI15HIP_vector_typeIsLj3EELj3ELj16EEvPT_S3_,"axG",@progbits,_Z18vector_test_kernelI15HIP_vector_typeIsLj3EELj3ELj16EEvPT_S3_,comdat
	.protected	_Z18vector_test_kernelI15HIP_vector_typeIsLj3EELj3ELj16EEvPT_S3_ ; -- Begin function _Z18vector_test_kernelI15HIP_vector_typeIsLj3EELj3ELj16EEvPT_S3_
	.globl	_Z18vector_test_kernelI15HIP_vector_typeIsLj3EELj3ELj16EEvPT_S3_
	.p2align	8
	.type	_Z18vector_test_kernelI15HIP_vector_typeIsLj3EELj3ELj16EEvPT_S3_,@function
_Z18vector_test_kernelI15HIP_vector_typeIsLj3EELj3ELj16EEvPT_S3_: ; @_Z18vector_test_kernelI15HIP_vector_typeIsLj3EELj3ELj16EEvPT_S3_
; %bb.0:
	s_load_dwordx2 s[0:1], s[4:5], 0x8
	v_lshl_add_u32 v0, s6, 4, v0
	v_mov_b32_e32 v2, 0
	s_waitcnt lgkmcnt(0)
	v_mad_u64_u32 v[0:1], s[0:1], v0, 6, s[0:1]
	global_store_dword v[0:1], v2, off
	global_store_short v[0:1], v2, off offset:4
	s_endpgm
	.section	.rodata,"a",@progbits
	.p2align	6, 0x0
	.amdhsa_kernel _Z18vector_test_kernelI15HIP_vector_typeIsLj3EELj3ELj16EEvPT_S3_
		.amdhsa_group_segment_fixed_size 0
		.amdhsa_private_segment_fixed_size 0
		.amdhsa_kernarg_size 16
		.amdhsa_user_sgpr_count 6
		.amdhsa_user_sgpr_private_segment_buffer 1
		.amdhsa_user_sgpr_dispatch_ptr 0
		.amdhsa_user_sgpr_queue_ptr 0
		.amdhsa_user_sgpr_kernarg_segment_ptr 1
		.amdhsa_user_sgpr_dispatch_id 0
		.amdhsa_user_sgpr_flat_scratch_init 0
		.amdhsa_user_sgpr_private_segment_size 0
		.amdhsa_uses_dynamic_stack 0
		.amdhsa_system_sgpr_private_segment_wavefront_offset 0
		.amdhsa_system_sgpr_workgroup_id_x 1
		.amdhsa_system_sgpr_workgroup_id_y 0
		.amdhsa_system_sgpr_workgroup_id_z 0
		.amdhsa_system_sgpr_workgroup_info 0
		.amdhsa_system_vgpr_workitem_id 0
		.amdhsa_next_free_vgpr 3
		.amdhsa_next_free_sgpr 7
		.amdhsa_reserve_vcc 0
		.amdhsa_reserve_flat_scratch 0
		.amdhsa_float_round_mode_32 0
		.amdhsa_float_round_mode_16_64 0
		.amdhsa_float_denorm_mode_32 3
		.amdhsa_float_denorm_mode_16_64 3
		.amdhsa_dx10_clamp 1
		.amdhsa_ieee_mode 1
		.amdhsa_fp16_overflow 0
		.amdhsa_exception_fp_ieee_invalid_op 0
		.amdhsa_exception_fp_denorm_src 0
		.amdhsa_exception_fp_ieee_div_zero 0
		.amdhsa_exception_fp_ieee_overflow 0
		.amdhsa_exception_fp_ieee_underflow 0
		.amdhsa_exception_fp_ieee_inexact 0
		.amdhsa_exception_int_div_zero 0
	.end_amdhsa_kernel
	.section	.text._Z18vector_test_kernelI15HIP_vector_typeIsLj3EELj3ELj16EEvPT_S3_,"axG",@progbits,_Z18vector_test_kernelI15HIP_vector_typeIsLj3EELj3ELj16EEvPT_S3_,comdat
.Lfunc_end34:
	.size	_Z18vector_test_kernelI15HIP_vector_typeIsLj3EELj3ELj16EEvPT_S3_, .Lfunc_end34-_Z18vector_test_kernelI15HIP_vector_typeIsLj3EELj3ELj16EEvPT_S3_
                                        ; -- End function
	.set _Z18vector_test_kernelI15HIP_vector_typeIsLj3EELj3ELj16EEvPT_S3_.num_vgpr, 3
	.set _Z18vector_test_kernelI15HIP_vector_typeIsLj3EELj3ELj16EEvPT_S3_.num_agpr, 0
	.set _Z18vector_test_kernelI15HIP_vector_typeIsLj3EELj3ELj16EEvPT_S3_.numbered_sgpr, 7
	.set _Z18vector_test_kernelI15HIP_vector_typeIsLj3EELj3ELj16EEvPT_S3_.num_named_barrier, 0
	.set _Z18vector_test_kernelI15HIP_vector_typeIsLj3EELj3ELj16EEvPT_S3_.private_seg_size, 0
	.set _Z18vector_test_kernelI15HIP_vector_typeIsLj3EELj3ELj16EEvPT_S3_.uses_vcc, 0
	.set _Z18vector_test_kernelI15HIP_vector_typeIsLj3EELj3ELj16EEvPT_S3_.uses_flat_scratch, 0
	.set _Z18vector_test_kernelI15HIP_vector_typeIsLj3EELj3ELj16EEvPT_S3_.has_dyn_sized_stack, 0
	.set _Z18vector_test_kernelI15HIP_vector_typeIsLj3EELj3ELj16EEvPT_S3_.has_recursion, 0
	.set _Z18vector_test_kernelI15HIP_vector_typeIsLj3EELj3ELj16EEvPT_S3_.has_indirect_call, 0
	.section	.AMDGPU.csdata,"",@progbits
; Kernel info:
; codeLenInByte = 52
; TotalNumSgprs: 11
; NumVgprs: 3
; ScratchSize: 0
; MemoryBound: 0
; FloatMode: 240
; IeeeMode: 1
; LDSByteSize: 0 bytes/workgroup (compile time only)
; SGPRBlocks: 1
; VGPRBlocks: 0
; NumSGPRsForWavesPerEU: 11
; NumVGPRsForWavesPerEU: 3
; Occupancy: 10
; WaveLimiterHint : 0
; COMPUTE_PGM_RSRC2:SCRATCH_EN: 0
; COMPUTE_PGM_RSRC2:USER_SGPR: 6
; COMPUTE_PGM_RSRC2:TRAP_HANDLER: 0
; COMPUTE_PGM_RSRC2:TGID_X_EN: 1
; COMPUTE_PGM_RSRC2:TGID_Y_EN: 0
; COMPUTE_PGM_RSRC2:TGID_Z_EN: 0
; COMPUTE_PGM_RSRC2:TIDIG_COMP_CNT: 0
	.section	.text._Z18vector_test_kernelI15HIP_vector_typeIcLj3EELj3ELj16EEvPT_S3_,"axG",@progbits,_Z18vector_test_kernelI15HIP_vector_typeIcLj3EELj3ELj16EEvPT_S3_,comdat
	.protected	_Z18vector_test_kernelI15HIP_vector_typeIcLj3EELj3ELj16EEvPT_S3_ ; -- Begin function _Z18vector_test_kernelI15HIP_vector_typeIcLj3EELj3ELj16EEvPT_S3_
	.globl	_Z18vector_test_kernelI15HIP_vector_typeIcLj3EELj3ELj16EEvPT_S3_
	.p2align	8
	.type	_Z18vector_test_kernelI15HIP_vector_typeIcLj3EELj3ELj16EEvPT_S3_,@function
_Z18vector_test_kernelI15HIP_vector_typeIcLj3EELj3ELj16EEvPT_S3_: ; @_Z18vector_test_kernelI15HIP_vector_typeIcLj3EELj3ELj16EEvPT_S3_
; %bb.0:
	s_load_dwordx2 s[0:1], s[4:5], 0x8
	v_lshl_add_u32 v0, s6, 4, v0
	v_mov_b32_e32 v2, 0
	s_waitcnt lgkmcnt(0)
	v_mad_u64_u32 v[0:1], s[0:1], v0, 3, s[0:1]
	global_store_byte v[0:1], v2, off offset:2
	global_store_short v[0:1], v2, off
	s_endpgm
	.section	.rodata,"a",@progbits
	.p2align	6, 0x0
	.amdhsa_kernel _Z18vector_test_kernelI15HIP_vector_typeIcLj3EELj3ELj16EEvPT_S3_
		.amdhsa_group_segment_fixed_size 0
		.amdhsa_private_segment_fixed_size 0
		.amdhsa_kernarg_size 16
		.amdhsa_user_sgpr_count 6
		.amdhsa_user_sgpr_private_segment_buffer 1
		.amdhsa_user_sgpr_dispatch_ptr 0
		.amdhsa_user_sgpr_queue_ptr 0
		.amdhsa_user_sgpr_kernarg_segment_ptr 1
		.amdhsa_user_sgpr_dispatch_id 0
		.amdhsa_user_sgpr_flat_scratch_init 0
		.amdhsa_user_sgpr_private_segment_size 0
		.amdhsa_uses_dynamic_stack 0
		.amdhsa_system_sgpr_private_segment_wavefront_offset 0
		.amdhsa_system_sgpr_workgroup_id_x 1
		.amdhsa_system_sgpr_workgroup_id_y 0
		.amdhsa_system_sgpr_workgroup_id_z 0
		.amdhsa_system_sgpr_workgroup_info 0
		.amdhsa_system_vgpr_workitem_id 0
		.amdhsa_next_free_vgpr 3
		.amdhsa_next_free_sgpr 7
		.amdhsa_reserve_vcc 0
		.amdhsa_reserve_flat_scratch 0
		.amdhsa_float_round_mode_32 0
		.amdhsa_float_round_mode_16_64 0
		.amdhsa_float_denorm_mode_32 3
		.amdhsa_float_denorm_mode_16_64 3
		.amdhsa_dx10_clamp 1
		.amdhsa_ieee_mode 1
		.amdhsa_fp16_overflow 0
		.amdhsa_exception_fp_ieee_invalid_op 0
		.amdhsa_exception_fp_denorm_src 0
		.amdhsa_exception_fp_ieee_div_zero 0
		.amdhsa_exception_fp_ieee_overflow 0
		.amdhsa_exception_fp_ieee_underflow 0
		.amdhsa_exception_fp_ieee_inexact 0
		.amdhsa_exception_int_div_zero 0
	.end_amdhsa_kernel
	.section	.text._Z18vector_test_kernelI15HIP_vector_typeIcLj3EELj3ELj16EEvPT_S3_,"axG",@progbits,_Z18vector_test_kernelI15HIP_vector_typeIcLj3EELj3ELj16EEvPT_S3_,comdat
.Lfunc_end35:
	.size	_Z18vector_test_kernelI15HIP_vector_typeIcLj3EELj3ELj16EEvPT_S3_, .Lfunc_end35-_Z18vector_test_kernelI15HIP_vector_typeIcLj3EELj3ELj16EEvPT_S3_
                                        ; -- End function
	.set _Z18vector_test_kernelI15HIP_vector_typeIcLj3EELj3ELj16EEvPT_S3_.num_vgpr, 3
	.set _Z18vector_test_kernelI15HIP_vector_typeIcLj3EELj3ELj16EEvPT_S3_.num_agpr, 0
	.set _Z18vector_test_kernelI15HIP_vector_typeIcLj3EELj3ELj16EEvPT_S3_.numbered_sgpr, 7
	.set _Z18vector_test_kernelI15HIP_vector_typeIcLj3EELj3ELj16EEvPT_S3_.num_named_barrier, 0
	.set _Z18vector_test_kernelI15HIP_vector_typeIcLj3EELj3ELj16EEvPT_S3_.private_seg_size, 0
	.set _Z18vector_test_kernelI15HIP_vector_typeIcLj3EELj3ELj16EEvPT_S3_.uses_vcc, 0
	.set _Z18vector_test_kernelI15HIP_vector_typeIcLj3EELj3ELj16EEvPT_S3_.uses_flat_scratch, 0
	.set _Z18vector_test_kernelI15HIP_vector_typeIcLj3EELj3ELj16EEvPT_S3_.has_dyn_sized_stack, 0
	.set _Z18vector_test_kernelI15HIP_vector_typeIcLj3EELj3ELj16EEvPT_S3_.has_recursion, 0
	.set _Z18vector_test_kernelI15HIP_vector_typeIcLj3EELj3ELj16EEvPT_S3_.has_indirect_call, 0
	.section	.AMDGPU.csdata,"",@progbits
; Kernel info:
; codeLenInByte = 52
; TotalNumSgprs: 11
; NumVgprs: 3
; ScratchSize: 0
; MemoryBound: 0
; FloatMode: 240
; IeeeMode: 1
; LDSByteSize: 0 bytes/workgroup (compile time only)
; SGPRBlocks: 1
; VGPRBlocks: 0
; NumSGPRsForWavesPerEU: 11
; NumVGPRsForWavesPerEU: 3
; Occupancy: 10
; WaveLimiterHint : 0
; COMPUTE_PGM_RSRC2:SCRATCH_EN: 0
; COMPUTE_PGM_RSRC2:USER_SGPR: 6
; COMPUTE_PGM_RSRC2:TRAP_HANDLER: 0
; COMPUTE_PGM_RSRC2:TGID_X_EN: 1
; COMPUTE_PGM_RSRC2:TGID_Y_EN: 0
; COMPUTE_PGM_RSRC2:TGID_Z_EN: 0
; COMPUTE_PGM_RSRC2:TIDIG_COMP_CNT: 0
	.section	.text._Z18vector_test_kernelI15HIP_vector_typeIhLj4EELj4ELj16EEvPT_S3_,"axG",@progbits,_Z18vector_test_kernelI15HIP_vector_typeIhLj4EELj4ELj16EEvPT_S3_,comdat
	.protected	_Z18vector_test_kernelI15HIP_vector_typeIhLj4EELj4ELj16EEvPT_S3_ ; -- Begin function _Z18vector_test_kernelI15HIP_vector_typeIhLj4EELj4ELj16EEvPT_S3_
	.globl	_Z18vector_test_kernelI15HIP_vector_typeIhLj4EELj4ELj16EEvPT_S3_
	.p2align	8
	.type	_Z18vector_test_kernelI15HIP_vector_typeIhLj4EELj4ELj16EEvPT_S3_,@function
_Z18vector_test_kernelI15HIP_vector_typeIhLj4EELj4ELj16EEvPT_S3_: ; @_Z18vector_test_kernelI15HIP_vector_typeIhLj4EELj4ELj16EEvPT_S3_
; %bb.0:
	s_load_dwordx2 s[0:1], s[4:5], 0x8
	v_lshl_add_u32 v0, s6, 4, v0
	v_mov_b32_e32 v1, 0
	v_lshlrev_b64 v[2:3], 2, v[0:1]
	s_waitcnt lgkmcnt(0)
	v_mov_b32_e32 v0, s1
	v_add_co_u32_e32 v2, vcc, s0, v2
	v_addc_co_u32_e32 v3, vcc, v0, v3, vcc
	global_store_dword v[2:3], v1, off
	s_endpgm
	.section	.rodata,"a",@progbits
	.p2align	6, 0x0
	.amdhsa_kernel _Z18vector_test_kernelI15HIP_vector_typeIhLj4EELj4ELj16EEvPT_S3_
		.amdhsa_group_segment_fixed_size 0
		.amdhsa_private_segment_fixed_size 0
		.amdhsa_kernarg_size 16
		.amdhsa_user_sgpr_count 6
		.amdhsa_user_sgpr_private_segment_buffer 1
		.amdhsa_user_sgpr_dispatch_ptr 0
		.amdhsa_user_sgpr_queue_ptr 0
		.amdhsa_user_sgpr_kernarg_segment_ptr 1
		.amdhsa_user_sgpr_dispatch_id 0
		.amdhsa_user_sgpr_flat_scratch_init 0
		.amdhsa_user_sgpr_private_segment_size 0
		.amdhsa_uses_dynamic_stack 0
		.amdhsa_system_sgpr_private_segment_wavefront_offset 0
		.amdhsa_system_sgpr_workgroup_id_x 1
		.amdhsa_system_sgpr_workgroup_id_y 0
		.amdhsa_system_sgpr_workgroup_id_z 0
		.amdhsa_system_sgpr_workgroup_info 0
		.amdhsa_system_vgpr_workitem_id 0
		.amdhsa_next_free_vgpr 4
		.amdhsa_next_free_sgpr 7
		.amdhsa_reserve_vcc 1
		.amdhsa_reserve_flat_scratch 0
		.amdhsa_float_round_mode_32 0
		.amdhsa_float_round_mode_16_64 0
		.amdhsa_float_denorm_mode_32 3
		.amdhsa_float_denorm_mode_16_64 3
		.amdhsa_dx10_clamp 1
		.amdhsa_ieee_mode 1
		.amdhsa_fp16_overflow 0
		.amdhsa_exception_fp_ieee_invalid_op 0
		.amdhsa_exception_fp_denorm_src 0
		.amdhsa_exception_fp_ieee_div_zero 0
		.amdhsa_exception_fp_ieee_overflow 0
		.amdhsa_exception_fp_ieee_underflow 0
		.amdhsa_exception_fp_ieee_inexact 0
		.amdhsa_exception_int_div_zero 0
	.end_amdhsa_kernel
	.section	.text._Z18vector_test_kernelI15HIP_vector_typeIhLj4EELj4ELj16EEvPT_S3_,"axG",@progbits,_Z18vector_test_kernelI15HIP_vector_typeIhLj4EELj4ELj16EEvPT_S3_,comdat
.Lfunc_end36:
	.size	_Z18vector_test_kernelI15HIP_vector_typeIhLj4EELj4ELj16EEvPT_S3_, .Lfunc_end36-_Z18vector_test_kernelI15HIP_vector_typeIhLj4EELj4ELj16EEvPT_S3_
                                        ; -- End function
	.set _Z18vector_test_kernelI15HIP_vector_typeIhLj4EELj4ELj16EEvPT_S3_.num_vgpr, 4
	.set _Z18vector_test_kernelI15HIP_vector_typeIhLj4EELj4ELj16EEvPT_S3_.num_agpr, 0
	.set _Z18vector_test_kernelI15HIP_vector_typeIhLj4EELj4ELj16EEvPT_S3_.numbered_sgpr, 7
	.set _Z18vector_test_kernelI15HIP_vector_typeIhLj4EELj4ELj16EEvPT_S3_.num_named_barrier, 0
	.set _Z18vector_test_kernelI15HIP_vector_typeIhLj4EELj4ELj16EEvPT_S3_.private_seg_size, 0
	.set _Z18vector_test_kernelI15HIP_vector_typeIhLj4EELj4ELj16EEvPT_S3_.uses_vcc, 1
	.set _Z18vector_test_kernelI15HIP_vector_typeIhLj4EELj4ELj16EEvPT_S3_.uses_flat_scratch, 0
	.set _Z18vector_test_kernelI15HIP_vector_typeIhLj4EELj4ELj16EEvPT_S3_.has_dyn_sized_stack, 0
	.set _Z18vector_test_kernelI15HIP_vector_typeIhLj4EELj4ELj16EEvPT_S3_.has_recursion, 0
	.set _Z18vector_test_kernelI15HIP_vector_typeIhLj4EELj4ELj16EEvPT_S3_.has_indirect_call, 0
	.section	.AMDGPU.csdata,"",@progbits
; Kernel info:
; codeLenInByte = 56
; TotalNumSgprs: 11
; NumVgprs: 4
; ScratchSize: 0
; MemoryBound: 0
; FloatMode: 240
; IeeeMode: 1
; LDSByteSize: 0 bytes/workgroup (compile time only)
; SGPRBlocks: 1
; VGPRBlocks: 0
; NumSGPRsForWavesPerEU: 11
; NumVGPRsForWavesPerEU: 4
; Occupancy: 10
; WaveLimiterHint : 0
; COMPUTE_PGM_RSRC2:SCRATCH_EN: 0
; COMPUTE_PGM_RSRC2:USER_SGPR: 6
; COMPUTE_PGM_RSRC2:TRAP_HANDLER: 0
; COMPUTE_PGM_RSRC2:TGID_X_EN: 1
; COMPUTE_PGM_RSRC2:TGID_Y_EN: 0
; COMPUTE_PGM_RSRC2:TGID_Z_EN: 0
; COMPUTE_PGM_RSRC2:TIDIG_COMP_CNT: 0
	.section	.text._Z18vector_test_kernelI15HIP_vector_typeIdLj4EELj4ELj16EEvPT_S3_,"axG",@progbits,_Z18vector_test_kernelI15HIP_vector_typeIdLj4EELj4ELj16EEvPT_S3_,comdat
	.protected	_Z18vector_test_kernelI15HIP_vector_typeIdLj4EELj4ELj16EEvPT_S3_ ; -- Begin function _Z18vector_test_kernelI15HIP_vector_typeIdLj4EELj4ELj16EEvPT_S3_
	.globl	_Z18vector_test_kernelI15HIP_vector_typeIdLj4EELj4ELj16EEvPT_S3_
	.p2align	8
	.type	_Z18vector_test_kernelI15HIP_vector_typeIdLj4EELj4ELj16EEvPT_S3_,@function
_Z18vector_test_kernelI15HIP_vector_typeIdLj4EELj4ELj16EEvPT_S3_: ; @_Z18vector_test_kernelI15HIP_vector_typeIdLj4EELj4ELj16EEvPT_S3_
; %bb.0:
	s_load_dwordx4 s[0:3], s[4:5], 0x0
	v_lshl_add_u32 v0, s6, 4, v0
	v_mov_b32_e32 v1, 0
	v_lshlrev_b64 v[8:9], 5, v[0:1]
	s_waitcnt lgkmcnt(0)
	v_mov_b32_e32 v0, s1
	v_add_co_u32_e32 v10, vcc, s0, v8
	v_addc_co_u32_e32 v11, vcc, v0, v9, vcc
	global_load_dwordx4 v[0:3], v[10:11], off offset:16
	global_load_dwordx4 v[4:7], v[10:11], off
	v_mov_b32_e32 v10, s3
	v_add_co_u32_e32 v8, vcc, s2, v8
	v_addc_co_u32_e32 v9, vcc, v10, v9, vcc
	s_waitcnt vmcnt(1)
	v_add_f64 v[2:3], v[2:3], -v[2:3]
	s_waitcnt vmcnt(0)
	v_add_f64 v[6:7], v[6:7], -v[6:7]
	v_add_f64 v[4:5], v[4:5], -v[4:5]
	;; [unrolled: 1-line block ×3, first 2 shown]
	global_store_dwordx4 v[8:9], v[4:7], off
	global_store_dwordx4 v[8:9], v[0:3], off offset:16
	s_endpgm
	.section	.rodata,"a",@progbits
	.p2align	6, 0x0
	.amdhsa_kernel _Z18vector_test_kernelI15HIP_vector_typeIdLj4EELj4ELj16EEvPT_S3_
		.amdhsa_group_segment_fixed_size 0
		.amdhsa_private_segment_fixed_size 0
		.amdhsa_kernarg_size 16
		.amdhsa_user_sgpr_count 6
		.amdhsa_user_sgpr_private_segment_buffer 1
		.amdhsa_user_sgpr_dispatch_ptr 0
		.amdhsa_user_sgpr_queue_ptr 0
		.amdhsa_user_sgpr_kernarg_segment_ptr 1
		.amdhsa_user_sgpr_dispatch_id 0
		.amdhsa_user_sgpr_flat_scratch_init 0
		.amdhsa_user_sgpr_private_segment_size 0
		.amdhsa_uses_dynamic_stack 0
		.amdhsa_system_sgpr_private_segment_wavefront_offset 0
		.amdhsa_system_sgpr_workgroup_id_x 1
		.amdhsa_system_sgpr_workgroup_id_y 0
		.amdhsa_system_sgpr_workgroup_id_z 0
		.amdhsa_system_sgpr_workgroup_info 0
		.amdhsa_system_vgpr_workitem_id 0
		.amdhsa_next_free_vgpr 12
		.amdhsa_next_free_sgpr 7
		.amdhsa_reserve_vcc 1
		.amdhsa_reserve_flat_scratch 0
		.amdhsa_float_round_mode_32 0
		.amdhsa_float_round_mode_16_64 0
		.amdhsa_float_denorm_mode_32 3
		.amdhsa_float_denorm_mode_16_64 3
		.amdhsa_dx10_clamp 1
		.amdhsa_ieee_mode 1
		.amdhsa_fp16_overflow 0
		.amdhsa_exception_fp_ieee_invalid_op 0
		.amdhsa_exception_fp_denorm_src 0
		.amdhsa_exception_fp_ieee_div_zero 0
		.amdhsa_exception_fp_ieee_overflow 0
		.amdhsa_exception_fp_ieee_underflow 0
		.amdhsa_exception_fp_ieee_inexact 0
		.amdhsa_exception_int_div_zero 0
	.end_amdhsa_kernel
	.section	.text._Z18vector_test_kernelI15HIP_vector_typeIdLj4EELj4ELj16EEvPT_S3_,"axG",@progbits,_Z18vector_test_kernelI15HIP_vector_typeIdLj4EELj4ELj16EEvPT_S3_,comdat
.Lfunc_end37:
	.size	_Z18vector_test_kernelI15HIP_vector_typeIdLj4EELj4ELj16EEvPT_S3_, .Lfunc_end37-_Z18vector_test_kernelI15HIP_vector_typeIdLj4EELj4ELj16EEvPT_S3_
                                        ; -- End function
	.set _Z18vector_test_kernelI15HIP_vector_typeIdLj4EELj4ELj16EEvPT_S3_.num_vgpr, 12
	.set _Z18vector_test_kernelI15HIP_vector_typeIdLj4EELj4ELj16EEvPT_S3_.num_agpr, 0
	.set _Z18vector_test_kernelI15HIP_vector_typeIdLj4EELj4ELj16EEvPT_S3_.numbered_sgpr, 7
	.set _Z18vector_test_kernelI15HIP_vector_typeIdLj4EELj4ELj16EEvPT_S3_.num_named_barrier, 0
	.set _Z18vector_test_kernelI15HIP_vector_typeIdLj4EELj4ELj16EEvPT_S3_.private_seg_size, 0
	.set _Z18vector_test_kernelI15HIP_vector_typeIdLj4EELj4ELj16EEvPT_S3_.uses_vcc, 1
	.set _Z18vector_test_kernelI15HIP_vector_typeIdLj4EELj4ELj16EEvPT_S3_.uses_flat_scratch, 0
	.set _Z18vector_test_kernelI15HIP_vector_typeIdLj4EELj4ELj16EEvPT_S3_.has_dyn_sized_stack, 0
	.set _Z18vector_test_kernelI15HIP_vector_typeIdLj4EELj4ELj16EEvPT_S3_.has_recursion, 0
	.set _Z18vector_test_kernelI15HIP_vector_typeIdLj4EELj4ELj16EEvPT_S3_.has_indirect_call, 0
	.section	.AMDGPU.csdata,"",@progbits
; Kernel info:
; codeLenInByte = 132
; TotalNumSgprs: 11
; NumVgprs: 12
; ScratchSize: 0
; MemoryBound: 0
; FloatMode: 240
; IeeeMode: 1
; LDSByteSize: 0 bytes/workgroup (compile time only)
; SGPRBlocks: 1
; VGPRBlocks: 2
; NumSGPRsForWavesPerEU: 11
; NumVGPRsForWavesPerEU: 12
; Occupancy: 10
; WaveLimiterHint : 0
; COMPUTE_PGM_RSRC2:SCRATCH_EN: 0
; COMPUTE_PGM_RSRC2:USER_SGPR: 6
; COMPUTE_PGM_RSRC2:TRAP_HANDLER: 0
; COMPUTE_PGM_RSRC2:TGID_X_EN: 1
; COMPUTE_PGM_RSRC2:TGID_Y_EN: 0
; COMPUTE_PGM_RSRC2:TGID_Z_EN: 0
; COMPUTE_PGM_RSRC2:TIDIG_COMP_CNT: 0
	.section	.text._Z18vector_test_kernelI15HIP_vector_typeIfLj4EELj4ELj16EEvPT_S3_,"axG",@progbits,_Z18vector_test_kernelI15HIP_vector_typeIfLj4EELj4ELj16EEvPT_S3_,comdat
	.protected	_Z18vector_test_kernelI15HIP_vector_typeIfLj4EELj4ELj16EEvPT_S3_ ; -- Begin function _Z18vector_test_kernelI15HIP_vector_typeIfLj4EELj4ELj16EEvPT_S3_
	.globl	_Z18vector_test_kernelI15HIP_vector_typeIfLj4EELj4ELj16EEvPT_S3_
	.p2align	8
	.type	_Z18vector_test_kernelI15HIP_vector_typeIfLj4EELj4ELj16EEvPT_S3_,@function
_Z18vector_test_kernelI15HIP_vector_typeIfLj4EELj4ELj16EEvPT_S3_: ; @_Z18vector_test_kernelI15HIP_vector_typeIfLj4EELj4ELj16EEvPT_S3_
; %bb.0:
	s_load_dwordx4 s[0:3], s[4:5], 0x0
	v_lshl_add_u32 v0, s6, 4, v0
	v_mov_b32_e32 v1, 0
	v_lshlrev_b64 v[4:5], 4, v[0:1]
	s_waitcnt lgkmcnt(0)
	v_mov_b32_e32 v1, s1
	v_add_co_u32_e32 v0, vcc, s0, v4
	v_addc_co_u32_e32 v1, vcc, v1, v5, vcc
	global_load_dwordx4 v[0:3], v[0:1], off
	v_mov_b32_e32 v6, s3
	v_add_co_u32_e32 v4, vcc, s2, v4
	v_addc_co_u32_e32 v5, vcc, v6, v5, vcc
	s_waitcnt vmcnt(0)
	v_sub_f32_e32 v3, v3, v3
	v_sub_f32_e32 v2, v2, v2
	;; [unrolled: 1-line block ×4, first 2 shown]
	global_store_dwordx4 v[4:5], v[0:3], off
	s_endpgm
	.section	.rodata,"a",@progbits
	.p2align	6, 0x0
	.amdhsa_kernel _Z18vector_test_kernelI15HIP_vector_typeIfLj4EELj4ELj16EEvPT_S3_
		.amdhsa_group_segment_fixed_size 0
		.amdhsa_private_segment_fixed_size 0
		.amdhsa_kernarg_size 16
		.amdhsa_user_sgpr_count 6
		.amdhsa_user_sgpr_private_segment_buffer 1
		.amdhsa_user_sgpr_dispatch_ptr 0
		.amdhsa_user_sgpr_queue_ptr 0
		.amdhsa_user_sgpr_kernarg_segment_ptr 1
		.amdhsa_user_sgpr_dispatch_id 0
		.amdhsa_user_sgpr_flat_scratch_init 0
		.amdhsa_user_sgpr_private_segment_size 0
		.amdhsa_uses_dynamic_stack 0
		.amdhsa_system_sgpr_private_segment_wavefront_offset 0
		.amdhsa_system_sgpr_workgroup_id_x 1
		.amdhsa_system_sgpr_workgroup_id_y 0
		.amdhsa_system_sgpr_workgroup_id_z 0
		.amdhsa_system_sgpr_workgroup_info 0
		.amdhsa_system_vgpr_workitem_id 0
		.amdhsa_next_free_vgpr 7
		.amdhsa_next_free_sgpr 7
		.amdhsa_reserve_vcc 1
		.amdhsa_reserve_flat_scratch 0
		.amdhsa_float_round_mode_32 0
		.amdhsa_float_round_mode_16_64 0
		.amdhsa_float_denorm_mode_32 3
		.amdhsa_float_denorm_mode_16_64 3
		.amdhsa_dx10_clamp 1
		.amdhsa_ieee_mode 1
		.amdhsa_fp16_overflow 0
		.amdhsa_exception_fp_ieee_invalid_op 0
		.amdhsa_exception_fp_denorm_src 0
		.amdhsa_exception_fp_ieee_div_zero 0
		.amdhsa_exception_fp_ieee_overflow 0
		.amdhsa_exception_fp_ieee_underflow 0
		.amdhsa_exception_fp_ieee_inexact 0
		.amdhsa_exception_int_div_zero 0
	.end_amdhsa_kernel
	.section	.text._Z18vector_test_kernelI15HIP_vector_typeIfLj4EELj4ELj16EEvPT_S3_,"axG",@progbits,_Z18vector_test_kernelI15HIP_vector_typeIfLj4EELj4ELj16EEvPT_S3_,comdat
.Lfunc_end38:
	.size	_Z18vector_test_kernelI15HIP_vector_typeIfLj4EELj4ELj16EEvPT_S3_, .Lfunc_end38-_Z18vector_test_kernelI15HIP_vector_typeIfLj4EELj4ELj16EEvPT_S3_
                                        ; -- End function
	.set _Z18vector_test_kernelI15HIP_vector_typeIfLj4EELj4ELj16EEvPT_S3_.num_vgpr, 7
	.set _Z18vector_test_kernelI15HIP_vector_typeIfLj4EELj4ELj16EEvPT_S3_.num_agpr, 0
	.set _Z18vector_test_kernelI15HIP_vector_typeIfLj4EELj4ELj16EEvPT_S3_.numbered_sgpr, 7
	.set _Z18vector_test_kernelI15HIP_vector_typeIfLj4EELj4ELj16EEvPT_S3_.num_named_barrier, 0
	.set _Z18vector_test_kernelI15HIP_vector_typeIfLj4EELj4ELj16EEvPT_S3_.private_seg_size, 0
	.set _Z18vector_test_kernelI15HIP_vector_typeIfLj4EELj4ELj16EEvPT_S3_.uses_vcc, 1
	.set _Z18vector_test_kernelI15HIP_vector_typeIfLj4EELj4ELj16EEvPT_S3_.uses_flat_scratch, 0
	.set _Z18vector_test_kernelI15HIP_vector_typeIfLj4EELj4ELj16EEvPT_S3_.has_dyn_sized_stack, 0
	.set _Z18vector_test_kernelI15HIP_vector_typeIfLj4EELj4ELj16EEvPT_S3_.has_recursion, 0
	.set _Z18vector_test_kernelI15HIP_vector_typeIfLj4EELj4ELj16EEvPT_S3_.has_indirect_call, 0
	.section	.AMDGPU.csdata,"",@progbits
; Kernel info:
; codeLenInByte = 96
; TotalNumSgprs: 11
; NumVgprs: 7
; ScratchSize: 0
; MemoryBound: 0
; FloatMode: 240
; IeeeMode: 1
; LDSByteSize: 0 bytes/workgroup (compile time only)
; SGPRBlocks: 1
; VGPRBlocks: 1
; NumSGPRsForWavesPerEU: 11
; NumVGPRsForWavesPerEU: 7
; Occupancy: 10
; WaveLimiterHint : 0
; COMPUTE_PGM_RSRC2:SCRATCH_EN: 0
; COMPUTE_PGM_RSRC2:USER_SGPR: 6
; COMPUTE_PGM_RSRC2:TRAP_HANDLER: 0
; COMPUTE_PGM_RSRC2:TGID_X_EN: 1
; COMPUTE_PGM_RSRC2:TGID_Y_EN: 0
; COMPUTE_PGM_RSRC2:TGID_Z_EN: 0
; COMPUTE_PGM_RSRC2:TIDIG_COMP_CNT: 0
	.section	.text._Z18vector_test_kernelI15HIP_vector_typeIyLj4EELj4ELj16EEvPT_S3_,"axG",@progbits,_Z18vector_test_kernelI15HIP_vector_typeIyLj4EELj4ELj16EEvPT_S3_,comdat
	.protected	_Z18vector_test_kernelI15HIP_vector_typeIyLj4EELj4ELj16EEvPT_S3_ ; -- Begin function _Z18vector_test_kernelI15HIP_vector_typeIyLj4EELj4ELj16EEvPT_S3_
	.globl	_Z18vector_test_kernelI15HIP_vector_typeIyLj4EELj4ELj16EEvPT_S3_
	.p2align	8
	.type	_Z18vector_test_kernelI15HIP_vector_typeIyLj4EELj4ELj16EEvPT_S3_,@function
_Z18vector_test_kernelI15HIP_vector_typeIyLj4EELj4ELj16EEvPT_S3_: ; @_Z18vector_test_kernelI15HIP_vector_typeIyLj4EELj4ELj16EEvPT_S3_
; %bb.0:
	s_load_dwordx2 s[0:1], s[4:5], 0x8
	v_lshl_add_u32 v0, s6, 4, v0
	v_mov_b32_e32 v1, 0
	v_lshlrev_b64 v[0:1], 5, v[0:1]
	s_waitcnt lgkmcnt(0)
	v_mov_b32_e32 v2, s1
	v_add_co_u32_e32 v4, vcc, s0, v0
	s_mov_b32 s0, 0
	v_addc_co_u32_e32 v5, vcc, v2, v1, vcc
	s_mov_b32 s1, s0
	s_mov_b32 s2, s0
	;; [unrolled: 1-line block ×3, first 2 shown]
	v_mov_b32_e32 v0, s0
	v_mov_b32_e32 v1, s1
	;; [unrolled: 1-line block ×4, first 2 shown]
	global_store_dwordx4 v[4:5], v[0:3], off
	global_store_dwordx4 v[4:5], v[0:3], off offset:16
	s_endpgm
	.section	.rodata,"a",@progbits
	.p2align	6, 0x0
	.amdhsa_kernel _Z18vector_test_kernelI15HIP_vector_typeIyLj4EELj4ELj16EEvPT_S3_
		.amdhsa_group_segment_fixed_size 0
		.amdhsa_private_segment_fixed_size 0
		.amdhsa_kernarg_size 16
		.amdhsa_user_sgpr_count 6
		.amdhsa_user_sgpr_private_segment_buffer 1
		.amdhsa_user_sgpr_dispatch_ptr 0
		.amdhsa_user_sgpr_queue_ptr 0
		.amdhsa_user_sgpr_kernarg_segment_ptr 1
		.amdhsa_user_sgpr_dispatch_id 0
		.amdhsa_user_sgpr_flat_scratch_init 0
		.amdhsa_user_sgpr_private_segment_size 0
		.amdhsa_uses_dynamic_stack 0
		.amdhsa_system_sgpr_private_segment_wavefront_offset 0
		.amdhsa_system_sgpr_workgroup_id_x 1
		.amdhsa_system_sgpr_workgroup_id_y 0
		.amdhsa_system_sgpr_workgroup_id_z 0
		.amdhsa_system_sgpr_workgroup_info 0
		.amdhsa_system_vgpr_workitem_id 0
		.amdhsa_next_free_vgpr 6
		.amdhsa_next_free_sgpr 7
		.amdhsa_reserve_vcc 1
		.amdhsa_reserve_flat_scratch 0
		.amdhsa_float_round_mode_32 0
		.amdhsa_float_round_mode_16_64 0
		.amdhsa_float_denorm_mode_32 3
		.amdhsa_float_denorm_mode_16_64 3
		.amdhsa_dx10_clamp 1
		.amdhsa_ieee_mode 1
		.amdhsa_fp16_overflow 0
		.amdhsa_exception_fp_ieee_invalid_op 0
		.amdhsa_exception_fp_denorm_src 0
		.amdhsa_exception_fp_ieee_div_zero 0
		.amdhsa_exception_fp_ieee_overflow 0
		.amdhsa_exception_fp_ieee_underflow 0
		.amdhsa_exception_fp_ieee_inexact 0
		.amdhsa_exception_int_div_zero 0
	.end_amdhsa_kernel
	.section	.text._Z18vector_test_kernelI15HIP_vector_typeIyLj4EELj4ELj16EEvPT_S3_,"axG",@progbits,_Z18vector_test_kernelI15HIP_vector_typeIyLj4EELj4ELj16EEvPT_S3_,comdat
.Lfunc_end39:
	.size	_Z18vector_test_kernelI15HIP_vector_typeIyLj4EELj4ELj16EEvPT_S3_, .Lfunc_end39-_Z18vector_test_kernelI15HIP_vector_typeIyLj4EELj4ELj16EEvPT_S3_
                                        ; -- End function
	.set _Z18vector_test_kernelI15HIP_vector_typeIyLj4EELj4ELj16EEvPT_S3_.num_vgpr, 6
	.set _Z18vector_test_kernelI15HIP_vector_typeIyLj4EELj4ELj16EEvPT_S3_.num_agpr, 0
	.set _Z18vector_test_kernelI15HIP_vector_typeIyLj4EELj4ELj16EEvPT_S3_.numbered_sgpr, 7
	.set _Z18vector_test_kernelI15HIP_vector_typeIyLj4EELj4ELj16EEvPT_S3_.num_named_barrier, 0
	.set _Z18vector_test_kernelI15HIP_vector_typeIyLj4EELj4ELj16EEvPT_S3_.private_seg_size, 0
	.set _Z18vector_test_kernelI15HIP_vector_typeIyLj4EELj4ELj16EEvPT_S3_.uses_vcc, 1
	.set _Z18vector_test_kernelI15HIP_vector_typeIyLj4EELj4ELj16EEvPT_S3_.uses_flat_scratch, 0
	.set _Z18vector_test_kernelI15HIP_vector_typeIyLj4EELj4ELj16EEvPT_S3_.has_dyn_sized_stack, 0
	.set _Z18vector_test_kernelI15HIP_vector_typeIyLj4EELj4ELj16EEvPT_S3_.has_recursion, 0
	.set _Z18vector_test_kernelI15HIP_vector_typeIyLj4EELj4ELj16EEvPT_S3_.has_indirect_call, 0
	.section	.AMDGPU.csdata,"",@progbits
; Kernel info:
; codeLenInByte = 96
; TotalNumSgprs: 11
; NumVgprs: 6
; ScratchSize: 0
; MemoryBound: 1
; FloatMode: 240
; IeeeMode: 1
; LDSByteSize: 0 bytes/workgroup (compile time only)
; SGPRBlocks: 1
; VGPRBlocks: 1
; NumSGPRsForWavesPerEU: 11
; NumVGPRsForWavesPerEU: 6
; Occupancy: 10
; WaveLimiterHint : 1
; COMPUTE_PGM_RSRC2:SCRATCH_EN: 0
; COMPUTE_PGM_RSRC2:USER_SGPR: 6
; COMPUTE_PGM_RSRC2:TRAP_HANDLER: 0
; COMPUTE_PGM_RSRC2:TGID_X_EN: 1
; COMPUTE_PGM_RSRC2:TGID_Y_EN: 0
; COMPUTE_PGM_RSRC2:TGID_Z_EN: 0
; COMPUTE_PGM_RSRC2:TIDIG_COMP_CNT: 0
	.section	.text._Z18vector_test_kernelI15HIP_vector_typeIxLj4EELj4ELj16EEvPT_S3_,"axG",@progbits,_Z18vector_test_kernelI15HIP_vector_typeIxLj4EELj4ELj16EEvPT_S3_,comdat
	.protected	_Z18vector_test_kernelI15HIP_vector_typeIxLj4EELj4ELj16EEvPT_S3_ ; -- Begin function _Z18vector_test_kernelI15HIP_vector_typeIxLj4EELj4ELj16EEvPT_S3_
	.globl	_Z18vector_test_kernelI15HIP_vector_typeIxLj4EELj4ELj16EEvPT_S3_
	.p2align	8
	.type	_Z18vector_test_kernelI15HIP_vector_typeIxLj4EELj4ELj16EEvPT_S3_,@function
_Z18vector_test_kernelI15HIP_vector_typeIxLj4EELj4ELj16EEvPT_S3_: ; @_Z18vector_test_kernelI15HIP_vector_typeIxLj4EELj4ELj16EEvPT_S3_
; %bb.0:
	s_load_dwordx2 s[0:1], s[4:5], 0x8
	v_lshl_add_u32 v0, s6, 4, v0
	v_mov_b32_e32 v1, 0
	v_lshlrev_b64 v[0:1], 5, v[0:1]
	s_waitcnt lgkmcnt(0)
	v_mov_b32_e32 v2, s1
	v_add_co_u32_e32 v4, vcc, s0, v0
	s_mov_b32 s0, 0
	v_addc_co_u32_e32 v5, vcc, v2, v1, vcc
	s_mov_b32 s1, s0
	s_mov_b32 s2, s0
	;; [unrolled: 1-line block ×3, first 2 shown]
	v_mov_b32_e32 v0, s0
	v_mov_b32_e32 v1, s1
	;; [unrolled: 1-line block ×4, first 2 shown]
	global_store_dwordx4 v[4:5], v[0:3], off
	global_store_dwordx4 v[4:5], v[0:3], off offset:16
	s_endpgm
	.section	.rodata,"a",@progbits
	.p2align	6, 0x0
	.amdhsa_kernel _Z18vector_test_kernelI15HIP_vector_typeIxLj4EELj4ELj16EEvPT_S3_
		.amdhsa_group_segment_fixed_size 0
		.amdhsa_private_segment_fixed_size 0
		.amdhsa_kernarg_size 16
		.amdhsa_user_sgpr_count 6
		.amdhsa_user_sgpr_private_segment_buffer 1
		.amdhsa_user_sgpr_dispatch_ptr 0
		.amdhsa_user_sgpr_queue_ptr 0
		.amdhsa_user_sgpr_kernarg_segment_ptr 1
		.amdhsa_user_sgpr_dispatch_id 0
		.amdhsa_user_sgpr_flat_scratch_init 0
		.amdhsa_user_sgpr_private_segment_size 0
		.amdhsa_uses_dynamic_stack 0
		.amdhsa_system_sgpr_private_segment_wavefront_offset 0
		.amdhsa_system_sgpr_workgroup_id_x 1
		.amdhsa_system_sgpr_workgroup_id_y 0
		.amdhsa_system_sgpr_workgroup_id_z 0
		.amdhsa_system_sgpr_workgroup_info 0
		.amdhsa_system_vgpr_workitem_id 0
		.amdhsa_next_free_vgpr 6
		.amdhsa_next_free_sgpr 7
		.amdhsa_reserve_vcc 1
		.amdhsa_reserve_flat_scratch 0
		.amdhsa_float_round_mode_32 0
		.amdhsa_float_round_mode_16_64 0
		.amdhsa_float_denorm_mode_32 3
		.amdhsa_float_denorm_mode_16_64 3
		.amdhsa_dx10_clamp 1
		.amdhsa_ieee_mode 1
		.amdhsa_fp16_overflow 0
		.amdhsa_exception_fp_ieee_invalid_op 0
		.amdhsa_exception_fp_denorm_src 0
		.amdhsa_exception_fp_ieee_div_zero 0
		.amdhsa_exception_fp_ieee_overflow 0
		.amdhsa_exception_fp_ieee_underflow 0
		.amdhsa_exception_fp_ieee_inexact 0
		.amdhsa_exception_int_div_zero 0
	.end_amdhsa_kernel
	.section	.text._Z18vector_test_kernelI15HIP_vector_typeIxLj4EELj4ELj16EEvPT_S3_,"axG",@progbits,_Z18vector_test_kernelI15HIP_vector_typeIxLj4EELj4ELj16EEvPT_S3_,comdat
.Lfunc_end40:
	.size	_Z18vector_test_kernelI15HIP_vector_typeIxLj4EELj4ELj16EEvPT_S3_, .Lfunc_end40-_Z18vector_test_kernelI15HIP_vector_typeIxLj4EELj4ELj16EEvPT_S3_
                                        ; -- End function
	.set _Z18vector_test_kernelI15HIP_vector_typeIxLj4EELj4ELj16EEvPT_S3_.num_vgpr, 6
	.set _Z18vector_test_kernelI15HIP_vector_typeIxLj4EELj4ELj16EEvPT_S3_.num_agpr, 0
	.set _Z18vector_test_kernelI15HIP_vector_typeIxLj4EELj4ELj16EEvPT_S3_.numbered_sgpr, 7
	.set _Z18vector_test_kernelI15HIP_vector_typeIxLj4EELj4ELj16EEvPT_S3_.num_named_barrier, 0
	.set _Z18vector_test_kernelI15HIP_vector_typeIxLj4EELj4ELj16EEvPT_S3_.private_seg_size, 0
	.set _Z18vector_test_kernelI15HIP_vector_typeIxLj4EELj4ELj16EEvPT_S3_.uses_vcc, 1
	.set _Z18vector_test_kernelI15HIP_vector_typeIxLj4EELj4ELj16EEvPT_S3_.uses_flat_scratch, 0
	.set _Z18vector_test_kernelI15HIP_vector_typeIxLj4EELj4ELj16EEvPT_S3_.has_dyn_sized_stack, 0
	.set _Z18vector_test_kernelI15HIP_vector_typeIxLj4EELj4ELj16EEvPT_S3_.has_recursion, 0
	.set _Z18vector_test_kernelI15HIP_vector_typeIxLj4EELj4ELj16EEvPT_S3_.has_indirect_call, 0
	.section	.AMDGPU.csdata,"",@progbits
; Kernel info:
; codeLenInByte = 96
; TotalNumSgprs: 11
; NumVgprs: 6
; ScratchSize: 0
; MemoryBound: 1
; FloatMode: 240
; IeeeMode: 1
; LDSByteSize: 0 bytes/workgroup (compile time only)
; SGPRBlocks: 1
; VGPRBlocks: 1
; NumSGPRsForWavesPerEU: 11
; NumVGPRsForWavesPerEU: 6
; Occupancy: 10
; WaveLimiterHint : 1
; COMPUTE_PGM_RSRC2:SCRATCH_EN: 0
; COMPUTE_PGM_RSRC2:USER_SGPR: 6
; COMPUTE_PGM_RSRC2:TRAP_HANDLER: 0
; COMPUTE_PGM_RSRC2:TGID_X_EN: 1
; COMPUTE_PGM_RSRC2:TGID_Y_EN: 0
; COMPUTE_PGM_RSRC2:TGID_Z_EN: 0
; COMPUTE_PGM_RSRC2:TIDIG_COMP_CNT: 0
	.section	.text._Z18vector_test_kernelI15HIP_vector_typeImLj4EELj4ELj16EEvPT_S3_,"axG",@progbits,_Z18vector_test_kernelI15HIP_vector_typeImLj4EELj4ELj16EEvPT_S3_,comdat
	.protected	_Z18vector_test_kernelI15HIP_vector_typeImLj4EELj4ELj16EEvPT_S3_ ; -- Begin function _Z18vector_test_kernelI15HIP_vector_typeImLj4EELj4ELj16EEvPT_S3_
	.globl	_Z18vector_test_kernelI15HIP_vector_typeImLj4EELj4ELj16EEvPT_S3_
	.p2align	8
	.type	_Z18vector_test_kernelI15HIP_vector_typeImLj4EELj4ELj16EEvPT_S3_,@function
_Z18vector_test_kernelI15HIP_vector_typeImLj4EELj4ELj16EEvPT_S3_: ; @_Z18vector_test_kernelI15HIP_vector_typeImLj4EELj4ELj16EEvPT_S3_
; %bb.0:
	s_load_dwordx2 s[0:1], s[4:5], 0x8
	v_lshl_add_u32 v0, s6, 4, v0
	v_mov_b32_e32 v1, 0
	v_lshlrev_b64 v[0:1], 5, v[0:1]
	s_waitcnt lgkmcnt(0)
	v_mov_b32_e32 v2, s1
	v_add_co_u32_e32 v4, vcc, s0, v0
	s_mov_b32 s0, 0
	v_addc_co_u32_e32 v5, vcc, v2, v1, vcc
	s_mov_b32 s1, s0
	s_mov_b32 s2, s0
	;; [unrolled: 1-line block ×3, first 2 shown]
	v_mov_b32_e32 v0, s0
	v_mov_b32_e32 v1, s1
	;; [unrolled: 1-line block ×4, first 2 shown]
	global_store_dwordx4 v[4:5], v[0:3], off
	global_store_dwordx4 v[4:5], v[0:3], off offset:16
	s_endpgm
	.section	.rodata,"a",@progbits
	.p2align	6, 0x0
	.amdhsa_kernel _Z18vector_test_kernelI15HIP_vector_typeImLj4EELj4ELj16EEvPT_S3_
		.amdhsa_group_segment_fixed_size 0
		.amdhsa_private_segment_fixed_size 0
		.amdhsa_kernarg_size 16
		.amdhsa_user_sgpr_count 6
		.amdhsa_user_sgpr_private_segment_buffer 1
		.amdhsa_user_sgpr_dispatch_ptr 0
		.amdhsa_user_sgpr_queue_ptr 0
		.amdhsa_user_sgpr_kernarg_segment_ptr 1
		.amdhsa_user_sgpr_dispatch_id 0
		.amdhsa_user_sgpr_flat_scratch_init 0
		.amdhsa_user_sgpr_private_segment_size 0
		.amdhsa_uses_dynamic_stack 0
		.amdhsa_system_sgpr_private_segment_wavefront_offset 0
		.amdhsa_system_sgpr_workgroup_id_x 1
		.amdhsa_system_sgpr_workgroup_id_y 0
		.amdhsa_system_sgpr_workgroup_id_z 0
		.amdhsa_system_sgpr_workgroup_info 0
		.amdhsa_system_vgpr_workitem_id 0
		.amdhsa_next_free_vgpr 6
		.amdhsa_next_free_sgpr 7
		.amdhsa_reserve_vcc 1
		.amdhsa_reserve_flat_scratch 0
		.amdhsa_float_round_mode_32 0
		.amdhsa_float_round_mode_16_64 0
		.amdhsa_float_denorm_mode_32 3
		.amdhsa_float_denorm_mode_16_64 3
		.amdhsa_dx10_clamp 1
		.amdhsa_ieee_mode 1
		.amdhsa_fp16_overflow 0
		.amdhsa_exception_fp_ieee_invalid_op 0
		.amdhsa_exception_fp_denorm_src 0
		.amdhsa_exception_fp_ieee_div_zero 0
		.amdhsa_exception_fp_ieee_overflow 0
		.amdhsa_exception_fp_ieee_underflow 0
		.amdhsa_exception_fp_ieee_inexact 0
		.amdhsa_exception_int_div_zero 0
	.end_amdhsa_kernel
	.section	.text._Z18vector_test_kernelI15HIP_vector_typeImLj4EELj4ELj16EEvPT_S3_,"axG",@progbits,_Z18vector_test_kernelI15HIP_vector_typeImLj4EELj4ELj16EEvPT_S3_,comdat
.Lfunc_end41:
	.size	_Z18vector_test_kernelI15HIP_vector_typeImLj4EELj4ELj16EEvPT_S3_, .Lfunc_end41-_Z18vector_test_kernelI15HIP_vector_typeImLj4EELj4ELj16EEvPT_S3_
                                        ; -- End function
	.set _Z18vector_test_kernelI15HIP_vector_typeImLj4EELj4ELj16EEvPT_S3_.num_vgpr, 6
	.set _Z18vector_test_kernelI15HIP_vector_typeImLj4EELj4ELj16EEvPT_S3_.num_agpr, 0
	.set _Z18vector_test_kernelI15HIP_vector_typeImLj4EELj4ELj16EEvPT_S3_.numbered_sgpr, 7
	.set _Z18vector_test_kernelI15HIP_vector_typeImLj4EELj4ELj16EEvPT_S3_.num_named_barrier, 0
	.set _Z18vector_test_kernelI15HIP_vector_typeImLj4EELj4ELj16EEvPT_S3_.private_seg_size, 0
	.set _Z18vector_test_kernelI15HIP_vector_typeImLj4EELj4ELj16EEvPT_S3_.uses_vcc, 1
	.set _Z18vector_test_kernelI15HIP_vector_typeImLj4EELj4ELj16EEvPT_S3_.uses_flat_scratch, 0
	.set _Z18vector_test_kernelI15HIP_vector_typeImLj4EELj4ELj16EEvPT_S3_.has_dyn_sized_stack, 0
	.set _Z18vector_test_kernelI15HIP_vector_typeImLj4EELj4ELj16EEvPT_S3_.has_recursion, 0
	.set _Z18vector_test_kernelI15HIP_vector_typeImLj4EELj4ELj16EEvPT_S3_.has_indirect_call, 0
	.section	.AMDGPU.csdata,"",@progbits
; Kernel info:
; codeLenInByte = 96
; TotalNumSgprs: 11
; NumVgprs: 6
; ScratchSize: 0
; MemoryBound: 1
; FloatMode: 240
; IeeeMode: 1
; LDSByteSize: 0 bytes/workgroup (compile time only)
; SGPRBlocks: 1
; VGPRBlocks: 1
; NumSGPRsForWavesPerEU: 11
; NumVGPRsForWavesPerEU: 6
; Occupancy: 10
; WaveLimiterHint : 1
; COMPUTE_PGM_RSRC2:SCRATCH_EN: 0
; COMPUTE_PGM_RSRC2:USER_SGPR: 6
; COMPUTE_PGM_RSRC2:TRAP_HANDLER: 0
; COMPUTE_PGM_RSRC2:TGID_X_EN: 1
; COMPUTE_PGM_RSRC2:TGID_Y_EN: 0
; COMPUTE_PGM_RSRC2:TGID_Z_EN: 0
; COMPUTE_PGM_RSRC2:TIDIG_COMP_CNT: 0
	.section	.text._Z18vector_test_kernelI15HIP_vector_typeIlLj4EELj4ELj16EEvPT_S3_,"axG",@progbits,_Z18vector_test_kernelI15HIP_vector_typeIlLj4EELj4ELj16EEvPT_S3_,comdat
	.protected	_Z18vector_test_kernelI15HIP_vector_typeIlLj4EELj4ELj16EEvPT_S3_ ; -- Begin function _Z18vector_test_kernelI15HIP_vector_typeIlLj4EELj4ELj16EEvPT_S3_
	.globl	_Z18vector_test_kernelI15HIP_vector_typeIlLj4EELj4ELj16EEvPT_S3_
	.p2align	8
	.type	_Z18vector_test_kernelI15HIP_vector_typeIlLj4EELj4ELj16EEvPT_S3_,@function
_Z18vector_test_kernelI15HIP_vector_typeIlLj4EELj4ELj16EEvPT_S3_: ; @_Z18vector_test_kernelI15HIP_vector_typeIlLj4EELj4ELj16EEvPT_S3_
; %bb.0:
	s_load_dwordx2 s[0:1], s[4:5], 0x8
	v_lshl_add_u32 v0, s6, 4, v0
	v_mov_b32_e32 v1, 0
	v_lshlrev_b64 v[0:1], 5, v[0:1]
	s_waitcnt lgkmcnt(0)
	v_mov_b32_e32 v2, s1
	v_add_co_u32_e32 v4, vcc, s0, v0
	s_mov_b32 s0, 0
	v_addc_co_u32_e32 v5, vcc, v2, v1, vcc
	s_mov_b32 s1, s0
	s_mov_b32 s2, s0
	;; [unrolled: 1-line block ×3, first 2 shown]
	v_mov_b32_e32 v0, s0
	v_mov_b32_e32 v1, s1
	;; [unrolled: 1-line block ×4, first 2 shown]
	global_store_dwordx4 v[4:5], v[0:3], off
	global_store_dwordx4 v[4:5], v[0:3], off offset:16
	s_endpgm
	.section	.rodata,"a",@progbits
	.p2align	6, 0x0
	.amdhsa_kernel _Z18vector_test_kernelI15HIP_vector_typeIlLj4EELj4ELj16EEvPT_S3_
		.amdhsa_group_segment_fixed_size 0
		.amdhsa_private_segment_fixed_size 0
		.amdhsa_kernarg_size 16
		.amdhsa_user_sgpr_count 6
		.amdhsa_user_sgpr_private_segment_buffer 1
		.amdhsa_user_sgpr_dispatch_ptr 0
		.amdhsa_user_sgpr_queue_ptr 0
		.amdhsa_user_sgpr_kernarg_segment_ptr 1
		.amdhsa_user_sgpr_dispatch_id 0
		.amdhsa_user_sgpr_flat_scratch_init 0
		.amdhsa_user_sgpr_private_segment_size 0
		.amdhsa_uses_dynamic_stack 0
		.amdhsa_system_sgpr_private_segment_wavefront_offset 0
		.amdhsa_system_sgpr_workgroup_id_x 1
		.amdhsa_system_sgpr_workgroup_id_y 0
		.amdhsa_system_sgpr_workgroup_id_z 0
		.amdhsa_system_sgpr_workgroup_info 0
		.amdhsa_system_vgpr_workitem_id 0
		.amdhsa_next_free_vgpr 6
		.amdhsa_next_free_sgpr 7
		.amdhsa_reserve_vcc 1
		.amdhsa_reserve_flat_scratch 0
		.amdhsa_float_round_mode_32 0
		.amdhsa_float_round_mode_16_64 0
		.amdhsa_float_denorm_mode_32 3
		.amdhsa_float_denorm_mode_16_64 3
		.amdhsa_dx10_clamp 1
		.amdhsa_ieee_mode 1
		.amdhsa_fp16_overflow 0
		.amdhsa_exception_fp_ieee_invalid_op 0
		.amdhsa_exception_fp_denorm_src 0
		.amdhsa_exception_fp_ieee_div_zero 0
		.amdhsa_exception_fp_ieee_overflow 0
		.amdhsa_exception_fp_ieee_underflow 0
		.amdhsa_exception_fp_ieee_inexact 0
		.amdhsa_exception_int_div_zero 0
	.end_amdhsa_kernel
	.section	.text._Z18vector_test_kernelI15HIP_vector_typeIlLj4EELj4ELj16EEvPT_S3_,"axG",@progbits,_Z18vector_test_kernelI15HIP_vector_typeIlLj4EELj4ELj16EEvPT_S3_,comdat
.Lfunc_end42:
	.size	_Z18vector_test_kernelI15HIP_vector_typeIlLj4EELj4ELj16EEvPT_S3_, .Lfunc_end42-_Z18vector_test_kernelI15HIP_vector_typeIlLj4EELj4ELj16EEvPT_S3_
                                        ; -- End function
	.set _Z18vector_test_kernelI15HIP_vector_typeIlLj4EELj4ELj16EEvPT_S3_.num_vgpr, 6
	.set _Z18vector_test_kernelI15HIP_vector_typeIlLj4EELj4ELj16EEvPT_S3_.num_agpr, 0
	.set _Z18vector_test_kernelI15HIP_vector_typeIlLj4EELj4ELj16EEvPT_S3_.numbered_sgpr, 7
	.set _Z18vector_test_kernelI15HIP_vector_typeIlLj4EELj4ELj16EEvPT_S3_.num_named_barrier, 0
	.set _Z18vector_test_kernelI15HIP_vector_typeIlLj4EELj4ELj16EEvPT_S3_.private_seg_size, 0
	.set _Z18vector_test_kernelI15HIP_vector_typeIlLj4EELj4ELj16EEvPT_S3_.uses_vcc, 1
	.set _Z18vector_test_kernelI15HIP_vector_typeIlLj4EELj4ELj16EEvPT_S3_.uses_flat_scratch, 0
	.set _Z18vector_test_kernelI15HIP_vector_typeIlLj4EELj4ELj16EEvPT_S3_.has_dyn_sized_stack, 0
	.set _Z18vector_test_kernelI15HIP_vector_typeIlLj4EELj4ELj16EEvPT_S3_.has_recursion, 0
	.set _Z18vector_test_kernelI15HIP_vector_typeIlLj4EELj4ELj16EEvPT_S3_.has_indirect_call, 0
	.section	.AMDGPU.csdata,"",@progbits
; Kernel info:
; codeLenInByte = 96
; TotalNumSgprs: 11
; NumVgprs: 6
; ScratchSize: 0
; MemoryBound: 1
; FloatMode: 240
; IeeeMode: 1
; LDSByteSize: 0 bytes/workgroup (compile time only)
; SGPRBlocks: 1
; VGPRBlocks: 1
; NumSGPRsForWavesPerEU: 11
; NumVGPRsForWavesPerEU: 6
; Occupancy: 10
; WaveLimiterHint : 1
; COMPUTE_PGM_RSRC2:SCRATCH_EN: 0
; COMPUTE_PGM_RSRC2:USER_SGPR: 6
; COMPUTE_PGM_RSRC2:TRAP_HANDLER: 0
; COMPUTE_PGM_RSRC2:TGID_X_EN: 1
; COMPUTE_PGM_RSRC2:TGID_Y_EN: 0
; COMPUTE_PGM_RSRC2:TGID_Z_EN: 0
; COMPUTE_PGM_RSRC2:TIDIG_COMP_CNT: 0
	.section	.text._Z18vector_test_kernelI15HIP_vector_typeIjLj4EELj4ELj16EEvPT_S3_,"axG",@progbits,_Z18vector_test_kernelI15HIP_vector_typeIjLj4EELj4ELj16EEvPT_S3_,comdat
	.protected	_Z18vector_test_kernelI15HIP_vector_typeIjLj4EELj4ELj16EEvPT_S3_ ; -- Begin function _Z18vector_test_kernelI15HIP_vector_typeIjLj4EELj4ELj16EEvPT_S3_
	.globl	_Z18vector_test_kernelI15HIP_vector_typeIjLj4EELj4ELj16EEvPT_S3_
	.p2align	8
	.type	_Z18vector_test_kernelI15HIP_vector_typeIjLj4EELj4ELj16EEvPT_S3_,@function
_Z18vector_test_kernelI15HIP_vector_typeIjLj4EELj4ELj16EEvPT_S3_: ; @_Z18vector_test_kernelI15HIP_vector_typeIjLj4EELj4ELj16EEvPT_S3_
; %bb.0:
	s_load_dwordx2 s[0:1], s[4:5], 0x8
	v_lshl_add_u32 v0, s6, 4, v0
	v_mov_b32_e32 v1, 0
	v_lshlrev_b64 v[2:3], 4, v[0:1]
	s_waitcnt lgkmcnt(0)
	v_mov_b32_e32 v0, s1
	v_add_co_u32_e32 v4, vcc, s0, v2
	v_addc_co_u32_e32 v5, vcc, v0, v3, vcc
	v_mov_b32_e32 v0, v1
	v_mov_b32_e32 v2, v1
	;; [unrolled: 1-line block ×3, first 2 shown]
	global_store_dwordx4 v[4:5], v[0:3], off
	s_endpgm
	.section	.rodata,"a",@progbits
	.p2align	6, 0x0
	.amdhsa_kernel _Z18vector_test_kernelI15HIP_vector_typeIjLj4EELj4ELj16EEvPT_S3_
		.amdhsa_group_segment_fixed_size 0
		.amdhsa_private_segment_fixed_size 0
		.amdhsa_kernarg_size 16
		.amdhsa_user_sgpr_count 6
		.amdhsa_user_sgpr_private_segment_buffer 1
		.amdhsa_user_sgpr_dispatch_ptr 0
		.amdhsa_user_sgpr_queue_ptr 0
		.amdhsa_user_sgpr_kernarg_segment_ptr 1
		.amdhsa_user_sgpr_dispatch_id 0
		.amdhsa_user_sgpr_flat_scratch_init 0
		.amdhsa_user_sgpr_private_segment_size 0
		.amdhsa_uses_dynamic_stack 0
		.amdhsa_system_sgpr_private_segment_wavefront_offset 0
		.amdhsa_system_sgpr_workgroup_id_x 1
		.amdhsa_system_sgpr_workgroup_id_y 0
		.amdhsa_system_sgpr_workgroup_id_z 0
		.amdhsa_system_sgpr_workgroup_info 0
		.amdhsa_system_vgpr_workitem_id 0
		.amdhsa_next_free_vgpr 6
		.amdhsa_next_free_sgpr 7
		.amdhsa_reserve_vcc 1
		.amdhsa_reserve_flat_scratch 0
		.amdhsa_float_round_mode_32 0
		.amdhsa_float_round_mode_16_64 0
		.amdhsa_float_denorm_mode_32 3
		.amdhsa_float_denorm_mode_16_64 3
		.amdhsa_dx10_clamp 1
		.amdhsa_ieee_mode 1
		.amdhsa_fp16_overflow 0
		.amdhsa_exception_fp_ieee_invalid_op 0
		.amdhsa_exception_fp_denorm_src 0
		.amdhsa_exception_fp_ieee_div_zero 0
		.amdhsa_exception_fp_ieee_overflow 0
		.amdhsa_exception_fp_ieee_underflow 0
		.amdhsa_exception_fp_ieee_inexact 0
		.amdhsa_exception_int_div_zero 0
	.end_amdhsa_kernel
	.section	.text._Z18vector_test_kernelI15HIP_vector_typeIjLj4EELj4ELj16EEvPT_S3_,"axG",@progbits,_Z18vector_test_kernelI15HIP_vector_typeIjLj4EELj4ELj16EEvPT_S3_,comdat
.Lfunc_end43:
	.size	_Z18vector_test_kernelI15HIP_vector_typeIjLj4EELj4ELj16EEvPT_S3_, .Lfunc_end43-_Z18vector_test_kernelI15HIP_vector_typeIjLj4EELj4ELj16EEvPT_S3_
                                        ; -- End function
	.set _Z18vector_test_kernelI15HIP_vector_typeIjLj4EELj4ELj16EEvPT_S3_.num_vgpr, 6
	.set _Z18vector_test_kernelI15HIP_vector_typeIjLj4EELj4ELj16EEvPT_S3_.num_agpr, 0
	.set _Z18vector_test_kernelI15HIP_vector_typeIjLj4EELj4ELj16EEvPT_S3_.numbered_sgpr, 7
	.set _Z18vector_test_kernelI15HIP_vector_typeIjLj4EELj4ELj16EEvPT_S3_.num_named_barrier, 0
	.set _Z18vector_test_kernelI15HIP_vector_typeIjLj4EELj4ELj16EEvPT_S3_.private_seg_size, 0
	.set _Z18vector_test_kernelI15HIP_vector_typeIjLj4EELj4ELj16EEvPT_S3_.uses_vcc, 1
	.set _Z18vector_test_kernelI15HIP_vector_typeIjLj4EELj4ELj16EEvPT_S3_.uses_flat_scratch, 0
	.set _Z18vector_test_kernelI15HIP_vector_typeIjLj4EELj4ELj16EEvPT_S3_.has_dyn_sized_stack, 0
	.set _Z18vector_test_kernelI15HIP_vector_typeIjLj4EELj4ELj16EEvPT_S3_.has_recursion, 0
	.set _Z18vector_test_kernelI15HIP_vector_typeIjLj4EELj4ELj16EEvPT_S3_.has_indirect_call, 0
	.section	.AMDGPU.csdata,"",@progbits
; Kernel info:
; codeLenInByte = 68
; TotalNumSgprs: 11
; NumVgprs: 6
; ScratchSize: 0
; MemoryBound: 0
; FloatMode: 240
; IeeeMode: 1
; LDSByteSize: 0 bytes/workgroup (compile time only)
; SGPRBlocks: 1
; VGPRBlocks: 1
; NumSGPRsForWavesPerEU: 11
; NumVGPRsForWavesPerEU: 6
; Occupancy: 10
; WaveLimiterHint : 0
; COMPUTE_PGM_RSRC2:SCRATCH_EN: 0
; COMPUTE_PGM_RSRC2:USER_SGPR: 6
; COMPUTE_PGM_RSRC2:TRAP_HANDLER: 0
; COMPUTE_PGM_RSRC2:TGID_X_EN: 1
; COMPUTE_PGM_RSRC2:TGID_Y_EN: 0
; COMPUTE_PGM_RSRC2:TGID_Z_EN: 0
; COMPUTE_PGM_RSRC2:TIDIG_COMP_CNT: 0
	.section	.text._Z18vector_test_kernelI15HIP_vector_typeIiLj4EELj4ELj16EEvPT_S3_,"axG",@progbits,_Z18vector_test_kernelI15HIP_vector_typeIiLj4EELj4ELj16EEvPT_S3_,comdat
	.protected	_Z18vector_test_kernelI15HIP_vector_typeIiLj4EELj4ELj16EEvPT_S3_ ; -- Begin function _Z18vector_test_kernelI15HIP_vector_typeIiLj4EELj4ELj16EEvPT_S3_
	.globl	_Z18vector_test_kernelI15HIP_vector_typeIiLj4EELj4ELj16EEvPT_S3_
	.p2align	8
	.type	_Z18vector_test_kernelI15HIP_vector_typeIiLj4EELj4ELj16EEvPT_S3_,@function
_Z18vector_test_kernelI15HIP_vector_typeIiLj4EELj4ELj16EEvPT_S3_: ; @_Z18vector_test_kernelI15HIP_vector_typeIiLj4EELj4ELj16EEvPT_S3_
; %bb.0:
	s_load_dwordx2 s[0:1], s[4:5], 0x8
	v_lshl_add_u32 v0, s6, 4, v0
	v_mov_b32_e32 v1, 0
	v_lshlrev_b64 v[2:3], 4, v[0:1]
	s_waitcnt lgkmcnt(0)
	v_mov_b32_e32 v0, s1
	v_add_co_u32_e32 v4, vcc, s0, v2
	v_addc_co_u32_e32 v5, vcc, v0, v3, vcc
	v_mov_b32_e32 v0, v1
	v_mov_b32_e32 v2, v1
	;; [unrolled: 1-line block ×3, first 2 shown]
	global_store_dwordx4 v[4:5], v[0:3], off
	s_endpgm
	.section	.rodata,"a",@progbits
	.p2align	6, 0x0
	.amdhsa_kernel _Z18vector_test_kernelI15HIP_vector_typeIiLj4EELj4ELj16EEvPT_S3_
		.amdhsa_group_segment_fixed_size 0
		.amdhsa_private_segment_fixed_size 0
		.amdhsa_kernarg_size 16
		.amdhsa_user_sgpr_count 6
		.amdhsa_user_sgpr_private_segment_buffer 1
		.amdhsa_user_sgpr_dispatch_ptr 0
		.amdhsa_user_sgpr_queue_ptr 0
		.amdhsa_user_sgpr_kernarg_segment_ptr 1
		.amdhsa_user_sgpr_dispatch_id 0
		.amdhsa_user_sgpr_flat_scratch_init 0
		.amdhsa_user_sgpr_private_segment_size 0
		.amdhsa_uses_dynamic_stack 0
		.amdhsa_system_sgpr_private_segment_wavefront_offset 0
		.amdhsa_system_sgpr_workgroup_id_x 1
		.amdhsa_system_sgpr_workgroup_id_y 0
		.amdhsa_system_sgpr_workgroup_id_z 0
		.amdhsa_system_sgpr_workgroup_info 0
		.amdhsa_system_vgpr_workitem_id 0
		.amdhsa_next_free_vgpr 6
		.amdhsa_next_free_sgpr 7
		.amdhsa_reserve_vcc 1
		.amdhsa_reserve_flat_scratch 0
		.amdhsa_float_round_mode_32 0
		.amdhsa_float_round_mode_16_64 0
		.amdhsa_float_denorm_mode_32 3
		.amdhsa_float_denorm_mode_16_64 3
		.amdhsa_dx10_clamp 1
		.amdhsa_ieee_mode 1
		.amdhsa_fp16_overflow 0
		.amdhsa_exception_fp_ieee_invalid_op 0
		.amdhsa_exception_fp_denorm_src 0
		.amdhsa_exception_fp_ieee_div_zero 0
		.amdhsa_exception_fp_ieee_overflow 0
		.amdhsa_exception_fp_ieee_underflow 0
		.amdhsa_exception_fp_ieee_inexact 0
		.amdhsa_exception_int_div_zero 0
	.end_amdhsa_kernel
	.section	.text._Z18vector_test_kernelI15HIP_vector_typeIiLj4EELj4ELj16EEvPT_S3_,"axG",@progbits,_Z18vector_test_kernelI15HIP_vector_typeIiLj4EELj4ELj16EEvPT_S3_,comdat
.Lfunc_end44:
	.size	_Z18vector_test_kernelI15HIP_vector_typeIiLj4EELj4ELj16EEvPT_S3_, .Lfunc_end44-_Z18vector_test_kernelI15HIP_vector_typeIiLj4EELj4ELj16EEvPT_S3_
                                        ; -- End function
	.set _Z18vector_test_kernelI15HIP_vector_typeIiLj4EELj4ELj16EEvPT_S3_.num_vgpr, 6
	.set _Z18vector_test_kernelI15HIP_vector_typeIiLj4EELj4ELj16EEvPT_S3_.num_agpr, 0
	.set _Z18vector_test_kernelI15HIP_vector_typeIiLj4EELj4ELj16EEvPT_S3_.numbered_sgpr, 7
	.set _Z18vector_test_kernelI15HIP_vector_typeIiLj4EELj4ELj16EEvPT_S3_.num_named_barrier, 0
	.set _Z18vector_test_kernelI15HIP_vector_typeIiLj4EELj4ELj16EEvPT_S3_.private_seg_size, 0
	.set _Z18vector_test_kernelI15HIP_vector_typeIiLj4EELj4ELj16EEvPT_S3_.uses_vcc, 1
	.set _Z18vector_test_kernelI15HIP_vector_typeIiLj4EELj4ELj16EEvPT_S3_.uses_flat_scratch, 0
	.set _Z18vector_test_kernelI15HIP_vector_typeIiLj4EELj4ELj16EEvPT_S3_.has_dyn_sized_stack, 0
	.set _Z18vector_test_kernelI15HIP_vector_typeIiLj4EELj4ELj16EEvPT_S3_.has_recursion, 0
	.set _Z18vector_test_kernelI15HIP_vector_typeIiLj4EELj4ELj16EEvPT_S3_.has_indirect_call, 0
	.section	.AMDGPU.csdata,"",@progbits
; Kernel info:
; codeLenInByte = 68
; TotalNumSgprs: 11
; NumVgprs: 6
; ScratchSize: 0
; MemoryBound: 0
; FloatMode: 240
; IeeeMode: 1
; LDSByteSize: 0 bytes/workgroup (compile time only)
; SGPRBlocks: 1
; VGPRBlocks: 1
; NumSGPRsForWavesPerEU: 11
; NumVGPRsForWavesPerEU: 6
; Occupancy: 10
; WaveLimiterHint : 0
; COMPUTE_PGM_RSRC2:SCRATCH_EN: 0
; COMPUTE_PGM_RSRC2:USER_SGPR: 6
; COMPUTE_PGM_RSRC2:TRAP_HANDLER: 0
; COMPUTE_PGM_RSRC2:TGID_X_EN: 1
; COMPUTE_PGM_RSRC2:TGID_Y_EN: 0
; COMPUTE_PGM_RSRC2:TGID_Z_EN: 0
; COMPUTE_PGM_RSRC2:TIDIG_COMP_CNT: 0
	.section	.text._Z18vector_test_kernelI15HIP_vector_typeItLj4EELj4ELj16EEvPT_S3_,"axG",@progbits,_Z18vector_test_kernelI15HIP_vector_typeItLj4EELj4ELj16EEvPT_S3_,comdat
	.protected	_Z18vector_test_kernelI15HIP_vector_typeItLj4EELj4ELj16EEvPT_S3_ ; -- Begin function _Z18vector_test_kernelI15HIP_vector_typeItLj4EELj4ELj16EEvPT_S3_
	.globl	_Z18vector_test_kernelI15HIP_vector_typeItLj4EELj4ELj16EEvPT_S3_
	.p2align	8
	.type	_Z18vector_test_kernelI15HIP_vector_typeItLj4EELj4ELj16EEvPT_S3_,@function
_Z18vector_test_kernelI15HIP_vector_typeItLj4EELj4ELj16EEvPT_S3_: ; @_Z18vector_test_kernelI15HIP_vector_typeItLj4EELj4ELj16EEvPT_S3_
; %bb.0:
	s_load_dwordx2 s[0:1], s[4:5], 0x8
	v_lshl_add_u32 v0, s6, 4, v0
	v_mov_b32_e32 v1, 0
	v_lshlrev_b64 v[2:3], 3, v[0:1]
	s_waitcnt lgkmcnt(0)
	v_mov_b32_e32 v0, s1
	v_add_co_u32_e32 v2, vcc, s0, v2
	v_addc_co_u32_e32 v3, vcc, v0, v3, vcc
	v_mov_b32_e32 v0, v1
	global_store_dwordx2 v[2:3], v[0:1], off
	s_endpgm
	.section	.rodata,"a",@progbits
	.p2align	6, 0x0
	.amdhsa_kernel _Z18vector_test_kernelI15HIP_vector_typeItLj4EELj4ELj16EEvPT_S3_
		.amdhsa_group_segment_fixed_size 0
		.amdhsa_private_segment_fixed_size 0
		.amdhsa_kernarg_size 16
		.amdhsa_user_sgpr_count 6
		.amdhsa_user_sgpr_private_segment_buffer 1
		.amdhsa_user_sgpr_dispatch_ptr 0
		.amdhsa_user_sgpr_queue_ptr 0
		.amdhsa_user_sgpr_kernarg_segment_ptr 1
		.amdhsa_user_sgpr_dispatch_id 0
		.amdhsa_user_sgpr_flat_scratch_init 0
		.amdhsa_user_sgpr_private_segment_size 0
		.amdhsa_uses_dynamic_stack 0
		.amdhsa_system_sgpr_private_segment_wavefront_offset 0
		.amdhsa_system_sgpr_workgroup_id_x 1
		.amdhsa_system_sgpr_workgroup_id_y 0
		.amdhsa_system_sgpr_workgroup_id_z 0
		.amdhsa_system_sgpr_workgroup_info 0
		.amdhsa_system_vgpr_workitem_id 0
		.amdhsa_next_free_vgpr 4
		.amdhsa_next_free_sgpr 7
		.amdhsa_reserve_vcc 1
		.amdhsa_reserve_flat_scratch 0
		.amdhsa_float_round_mode_32 0
		.amdhsa_float_round_mode_16_64 0
		.amdhsa_float_denorm_mode_32 3
		.amdhsa_float_denorm_mode_16_64 3
		.amdhsa_dx10_clamp 1
		.amdhsa_ieee_mode 1
		.amdhsa_fp16_overflow 0
		.amdhsa_exception_fp_ieee_invalid_op 0
		.amdhsa_exception_fp_denorm_src 0
		.amdhsa_exception_fp_ieee_div_zero 0
		.amdhsa_exception_fp_ieee_overflow 0
		.amdhsa_exception_fp_ieee_underflow 0
		.amdhsa_exception_fp_ieee_inexact 0
		.amdhsa_exception_int_div_zero 0
	.end_amdhsa_kernel
	.section	.text._Z18vector_test_kernelI15HIP_vector_typeItLj4EELj4ELj16EEvPT_S3_,"axG",@progbits,_Z18vector_test_kernelI15HIP_vector_typeItLj4EELj4ELj16EEvPT_S3_,comdat
.Lfunc_end45:
	.size	_Z18vector_test_kernelI15HIP_vector_typeItLj4EELj4ELj16EEvPT_S3_, .Lfunc_end45-_Z18vector_test_kernelI15HIP_vector_typeItLj4EELj4ELj16EEvPT_S3_
                                        ; -- End function
	.set _Z18vector_test_kernelI15HIP_vector_typeItLj4EELj4ELj16EEvPT_S3_.num_vgpr, 4
	.set _Z18vector_test_kernelI15HIP_vector_typeItLj4EELj4ELj16EEvPT_S3_.num_agpr, 0
	.set _Z18vector_test_kernelI15HIP_vector_typeItLj4EELj4ELj16EEvPT_S3_.numbered_sgpr, 7
	.set _Z18vector_test_kernelI15HIP_vector_typeItLj4EELj4ELj16EEvPT_S3_.num_named_barrier, 0
	.set _Z18vector_test_kernelI15HIP_vector_typeItLj4EELj4ELj16EEvPT_S3_.private_seg_size, 0
	.set _Z18vector_test_kernelI15HIP_vector_typeItLj4EELj4ELj16EEvPT_S3_.uses_vcc, 1
	.set _Z18vector_test_kernelI15HIP_vector_typeItLj4EELj4ELj16EEvPT_S3_.uses_flat_scratch, 0
	.set _Z18vector_test_kernelI15HIP_vector_typeItLj4EELj4ELj16EEvPT_S3_.has_dyn_sized_stack, 0
	.set _Z18vector_test_kernelI15HIP_vector_typeItLj4EELj4ELj16EEvPT_S3_.has_recursion, 0
	.set _Z18vector_test_kernelI15HIP_vector_typeItLj4EELj4ELj16EEvPT_S3_.has_indirect_call, 0
	.section	.AMDGPU.csdata,"",@progbits
; Kernel info:
; codeLenInByte = 60
; TotalNumSgprs: 11
; NumVgprs: 4
; ScratchSize: 0
; MemoryBound: 0
; FloatMode: 240
; IeeeMode: 1
; LDSByteSize: 0 bytes/workgroup (compile time only)
; SGPRBlocks: 1
; VGPRBlocks: 0
; NumSGPRsForWavesPerEU: 11
; NumVGPRsForWavesPerEU: 4
; Occupancy: 10
; WaveLimiterHint : 0
; COMPUTE_PGM_RSRC2:SCRATCH_EN: 0
; COMPUTE_PGM_RSRC2:USER_SGPR: 6
; COMPUTE_PGM_RSRC2:TRAP_HANDLER: 0
; COMPUTE_PGM_RSRC2:TGID_X_EN: 1
; COMPUTE_PGM_RSRC2:TGID_Y_EN: 0
; COMPUTE_PGM_RSRC2:TGID_Z_EN: 0
; COMPUTE_PGM_RSRC2:TIDIG_COMP_CNT: 0
	.section	.text._Z18vector_test_kernelI15HIP_vector_typeIsLj4EELj4ELj16EEvPT_S3_,"axG",@progbits,_Z18vector_test_kernelI15HIP_vector_typeIsLj4EELj4ELj16EEvPT_S3_,comdat
	.protected	_Z18vector_test_kernelI15HIP_vector_typeIsLj4EELj4ELj16EEvPT_S3_ ; -- Begin function _Z18vector_test_kernelI15HIP_vector_typeIsLj4EELj4ELj16EEvPT_S3_
	.globl	_Z18vector_test_kernelI15HIP_vector_typeIsLj4EELj4ELj16EEvPT_S3_
	.p2align	8
	.type	_Z18vector_test_kernelI15HIP_vector_typeIsLj4EELj4ELj16EEvPT_S3_,@function
_Z18vector_test_kernelI15HIP_vector_typeIsLj4EELj4ELj16EEvPT_S3_: ; @_Z18vector_test_kernelI15HIP_vector_typeIsLj4EELj4ELj16EEvPT_S3_
; %bb.0:
	s_load_dwordx2 s[0:1], s[4:5], 0x8
	v_lshl_add_u32 v0, s6, 4, v0
	v_mov_b32_e32 v1, 0
	v_lshlrev_b64 v[2:3], 3, v[0:1]
	s_waitcnt lgkmcnt(0)
	v_mov_b32_e32 v0, s1
	v_add_co_u32_e32 v2, vcc, s0, v2
	v_addc_co_u32_e32 v3, vcc, v0, v3, vcc
	v_mov_b32_e32 v0, v1
	global_store_dwordx2 v[2:3], v[0:1], off
	s_endpgm
	.section	.rodata,"a",@progbits
	.p2align	6, 0x0
	.amdhsa_kernel _Z18vector_test_kernelI15HIP_vector_typeIsLj4EELj4ELj16EEvPT_S3_
		.amdhsa_group_segment_fixed_size 0
		.amdhsa_private_segment_fixed_size 0
		.amdhsa_kernarg_size 16
		.amdhsa_user_sgpr_count 6
		.amdhsa_user_sgpr_private_segment_buffer 1
		.amdhsa_user_sgpr_dispatch_ptr 0
		.amdhsa_user_sgpr_queue_ptr 0
		.amdhsa_user_sgpr_kernarg_segment_ptr 1
		.amdhsa_user_sgpr_dispatch_id 0
		.amdhsa_user_sgpr_flat_scratch_init 0
		.amdhsa_user_sgpr_private_segment_size 0
		.amdhsa_uses_dynamic_stack 0
		.amdhsa_system_sgpr_private_segment_wavefront_offset 0
		.amdhsa_system_sgpr_workgroup_id_x 1
		.amdhsa_system_sgpr_workgroup_id_y 0
		.amdhsa_system_sgpr_workgroup_id_z 0
		.amdhsa_system_sgpr_workgroup_info 0
		.amdhsa_system_vgpr_workitem_id 0
		.amdhsa_next_free_vgpr 4
		.amdhsa_next_free_sgpr 7
		.amdhsa_reserve_vcc 1
		.amdhsa_reserve_flat_scratch 0
		.amdhsa_float_round_mode_32 0
		.amdhsa_float_round_mode_16_64 0
		.amdhsa_float_denorm_mode_32 3
		.amdhsa_float_denorm_mode_16_64 3
		.amdhsa_dx10_clamp 1
		.amdhsa_ieee_mode 1
		.amdhsa_fp16_overflow 0
		.amdhsa_exception_fp_ieee_invalid_op 0
		.amdhsa_exception_fp_denorm_src 0
		.amdhsa_exception_fp_ieee_div_zero 0
		.amdhsa_exception_fp_ieee_overflow 0
		.amdhsa_exception_fp_ieee_underflow 0
		.amdhsa_exception_fp_ieee_inexact 0
		.amdhsa_exception_int_div_zero 0
	.end_amdhsa_kernel
	.section	.text._Z18vector_test_kernelI15HIP_vector_typeIsLj4EELj4ELj16EEvPT_S3_,"axG",@progbits,_Z18vector_test_kernelI15HIP_vector_typeIsLj4EELj4ELj16EEvPT_S3_,comdat
.Lfunc_end46:
	.size	_Z18vector_test_kernelI15HIP_vector_typeIsLj4EELj4ELj16EEvPT_S3_, .Lfunc_end46-_Z18vector_test_kernelI15HIP_vector_typeIsLj4EELj4ELj16EEvPT_S3_
                                        ; -- End function
	.set _Z18vector_test_kernelI15HIP_vector_typeIsLj4EELj4ELj16EEvPT_S3_.num_vgpr, 4
	.set _Z18vector_test_kernelI15HIP_vector_typeIsLj4EELj4ELj16EEvPT_S3_.num_agpr, 0
	.set _Z18vector_test_kernelI15HIP_vector_typeIsLj4EELj4ELj16EEvPT_S3_.numbered_sgpr, 7
	.set _Z18vector_test_kernelI15HIP_vector_typeIsLj4EELj4ELj16EEvPT_S3_.num_named_barrier, 0
	.set _Z18vector_test_kernelI15HIP_vector_typeIsLj4EELj4ELj16EEvPT_S3_.private_seg_size, 0
	.set _Z18vector_test_kernelI15HIP_vector_typeIsLj4EELj4ELj16EEvPT_S3_.uses_vcc, 1
	.set _Z18vector_test_kernelI15HIP_vector_typeIsLj4EELj4ELj16EEvPT_S3_.uses_flat_scratch, 0
	.set _Z18vector_test_kernelI15HIP_vector_typeIsLj4EELj4ELj16EEvPT_S3_.has_dyn_sized_stack, 0
	.set _Z18vector_test_kernelI15HIP_vector_typeIsLj4EELj4ELj16EEvPT_S3_.has_recursion, 0
	.set _Z18vector_test_kernelI15HIP_vector_typeIsLj4EELj4ELj16EEvPT_S3_.has_indirect_call, 0
	.section	.AMDGPU.csdata,"",@progbits
; Kernel info:
; codeLenInByte = 60
; TotalNumSgprs: 11
; NumVgprs: 4
; ScratchSize: 0
; MemoryBound: 0
; FloatMode: 240
; IeeeMode: 1
; LDSByteSize: 0 bytes/workgroup (compile time only)
; SGPRBlocks: 1
; VGPRBlocks: 0
; NumSGPRsForWavesPerEU: 11
; NumVGPRsForWavesPerEU: 4
; Occupancy: 10
; WaveLimiterHint : 0
; COMPUTE_PGM_RSRC2:SCRATCH_EN: 0
; COMPUTE_PGM_RSRC2:USER_SGPR: 6
; COMPUTE_PGM_RSRC2:TRAP_HANDLER: 0
; COMPUTE_PGM_RSRC2:TGID_X_EN: 1
; COMPUTE_PGM_RSRC2:TGID_Y_EN: 0
; COMPUTE_PGM_RSRC2:TGID_Z_EN: 0
; COMPUTE_PGM_RSRC2:TIDIG_COMP_CNT: 0
	.section	.text._Z18vector_test_kernelI15HIP_vector_typeIcLj4EELj4ELj16EEvPT_S3_,"axG",@progbits,_Z18vector_test_kernelI15HIP_vector_typeIcLj4EELj4ELj16EEvPT_S3_,comdat
	.protected	_Z18vector_test_kernelI15HIP_vector_typeIcLj4EELj4ELj16EEvPT_S3_ ; -- Begin function _Z18vector_test_kernelI15HIP_vector_typeIcLj4EELj4ELj16EEvPT_S3_
	.globl	_Z18vector_test_kernelI15HIP_vector_typeIcLj4EELj4ELj16EEvPT_S3_
	.p2align	8
	.type	_Z18vector_test_kernelI15HIP_vector_typeIcLj4EELj4ELj16EEvPT_S3_,@function
_Z18vector_test_kernelI15HIP_vector_typeIcLj4EELj4ELj16EEvPT_S3_: ; @_Z18vector_test_kernelI15HIP_vector_typeIcLj4EELj4ELj16EEvPT_S3_
; %bb.0:
	s_load_dwordx2 s[0:1], s[4:5], 0x8
	v_lshl_add_u32 v0, s6, 4, v0
	v_mov_b32_e32 v1, 0
	v_lshlrev_b64 v[2:3], 2, v[0:1]
	s_waitcnt lgkmcnt(0)
	v_mov_b32_e32 v0, s1
	v_add_co_u32_e32 v2, vcc, s0, v2
	v_addc_co_u32_e32 v3, vcc, v0, v3, vcc
	global_store_dword v[2:3], v1, off
	s_endpgm
	.section	.rodata,"a",@progbits
	.p2align	6, 0x0
	.amdhsa_kernel _Z18vector_test_kernelI15HIP_vector_typeIcLj4EELj4ELj16EEvPT_S3_
		.amdhsa_group_segment_fixed_size 0
		.amdhsa_private_segment_fixed_size 0
		.amdhsa_kernarg_size 16
		.amdhsa_user_sgpr_count 6
		.amdhsa_user_sgpr_private_segment_buffer 1
		.amdhsa_user_sgpr_dispatch_ptr 0
		.amdhsa_user_sgpr_queue_ptr 0
		.amdhsa_user_sgpr_kernarg_segment_ptr 1
		.amdhsa_user_sgpr_dispatch_id 0
		.amdhsa_user_sgpr_flat_scratch_init 0
		.amdhsa_user_sgpr_private_segment_size 0
		.amdhsa_uses_dynamic_stack 0
		.amdhsa_system_sgpr_private_segment_wavefront_offset 0
		.amdhsa_system_sgpr_workgroup_id_x 1
		.amdhsa_system_sgpr_workgroup_id_y 0
		.amdhsa_system_sgpr_workgroup_id_z 0
		.amdhsa_system_sgpr_workgroup_info 0
		.amdhsa_system_vgpr_workitem_id 0
		.amdhsa_next_free_vgpr 4
		.amdhsa_next_free_sgpr 7
		.amdhsa_reserve_vcc 1
		.amdhsa_reserve_flat_scratch 0
		.amdhsa_float_round_mode_32 0
		.amdhsa_float_round_mode_16_64 0
		.amdhsa_float_denorm_mode_32 3
		.amdhsa_float_denorm_mode_16_64 3
		.amdhsa_dx10_clamp 1
		.amdhsa_ieee_mode 1
		.amdhsa_fp16_overflow 0
		.amdhsa_exception_fp_ieee_invalid_op 0
		.amdhsa_exception_fp_denorm_src 0
		.amdhsa_exception_fp_ieee_div_zero 0
		.amdhsa_exception_fp_ieee_overflow 0
		.amdhsa_exception_fp_ieee_underflow 0
		.amdhsa_exception_fp_ieee_inexact 0
		.amdhsa_exception_int_div_zero 0
	.end_amdhsa_kernel
	.section	.text._Z18vector_test_kernelI15HIP_vector_typeIcLj4EELj4ELj16EEvPT_S3_,"axG",@progbits,_Z18vector_test_kernelI15HIP_vector_typeIcLj4EELj4ELj16EEvPT_S3_,comdat
.Lfunc_end47:
	.size	_Z18vector_test_kernelI15HIP_vector_typeIcLj4EELj4ELj16EEvPT_S3_, .Lfunc_end47-_Z18vector_test_kernelI15HIP_vector_typeIcLj4EELj4ELj16EEvPT_S3_
                                        ; -- End function
	.set _Z18vector_test_kernelI15HIP_vector_typeIcLj4EELj4ELj16EEvPT_S3_.num_vgpr, 4
	.set _Z18vector_test_kernelI15HIP_vector_typeIcLj4EELj4ELj16EEvPT_S3_.num_agpr, 0
	.set _Z18vector_test_kernelI15HIP_vector_typeIcLj4EELj4ELj16EEvPT_S3_.numbered_sgpr, 7
	.set _Z18vector_test_kernelI15HIP_vector_typeIcLj4EELj4ELj16EEvPT_S3_.num_named_barrier, 0
	.set _Z18vector_test_kernelI15HIP_vector_typeIcLj4EELj4ELj16EEvPT_S3_.private_seg_size, 0
	.set _Z18vector_test_kernelI15HIP_vector_typeIcLj4EELj4ELj16EEvPT_S3_.uses_vcc, 1
	.set _Z18vector_test_kernelI15HIP_vector_typeIcLj4EELj4ELj16EEvPT_S3_.uses_flat_scratch, 0
	.set _Z18vector_test_kernelI15HIP_vector_typeIcLj4EELj4ELj16EEvPT_S3_.has_dyn_sized_stack, 0
	.set _Z18vector_test_kernelI15HIP_vector_typeIcLj4EELj4ELj16EEvPT_S3_.has_recursion, 0
	.set _Z18vector_test_kernelI15HIP_vector_typeIcLj4EELj4ELj16EEvPT_S3_.has_indirect_call, 0
	.section	.AMDGPU.csdata,"",@progbits
; Kernel info:
; codeLenInByte = 56
; TotalNumSgprs: 11
; NumVgprs: 4
; ScratchSize: 0
; MemoryBound: 0
; FloatMode: 240
; IeeeMode: 1
; LDSByteSize: 0 bytes/workgroup (compile time only)
; SGPRBlocks: 1
; VGPRBlocks: 0
; NumSGPRsForWavesPerEU: 11
; NumVGPRsForWavesPerEU: 4
; Occupancy: 10
; WaveLimiterHint : 0
; COMPUTE_PGM_RSRC2:SCRATCH_EN: 0
; COMPUTE_PGM_RSRC2:USER_SGPR: 6
; COMPUTE_PGM_RSRC2:TRAP_HANDLER: 0
; COMPUTE_PGM_RSRC2:TGID_X_EN: 1
; COMPUTE_PGM_RSRC2:TGID_Y_EN: 0
; COMPUTE_PGM_RSRC2:TGID_Z_EN: 0
; COMPUTE_PGM_RSRC2:TIDIG_COMP_CNT: 0
	.section	.AMDGPU.gpr_maximums,"",@progbits
	.set amdgpu.max_num_vgpr, 0
	.set amdgpu.max_num_agpr, 0
	.set amdgpu.max_num_sgpr, 0
	.section	.AMDGPU.csdata,"",@progbits
	.type	__hip_cuid_767557cd90e19839,@object ; @__hip_cuid_767557cd90e19839
	.section	.bss,"aw",@nobits
	.globl	__hip_cuid_767557cd90e19839
__hip_cuid_767557cd90e19839:
	.byte	0                               ; 0x0
	.size	__hip_cuid_767557cd90e19839, 1

	.ident	"AMD clang version 22.0.0git (https://github.com/RadeonOpenCompute/llvm-project roc-7.2.4 26084 f58b06dce1f9c15707c5f808fd002e18c2accf7e)"
	.section	".note.GNU-stack","",@progbits
	.addrsig
	.addrsig_sym __hip_cuid_767557cd90e19839
	.amdgpu_metadata
---
amdhsa.kernels:
  - .args:
      - .address_space:  global
        .offset:         0
        .size:           8
        .value_kind:     global_buffer
      - .address_space:  global
        .offset:         8
        .size:           8
        .value_kind:     global_buffer
    .group_segment_fixed_size: 0
    .kernarg_segment_align: 8
    .kernarg_segment_size: 16
    .language:       OpenCL C
    .language_version:
      - 2
      - 0
    .max_flat_workgroup_size: 1024
    .name:           _Z18vector_test_kernelI15HIP_vector_typeIhLj1EELj1ELj16EEvPT_S3_
    .private_segment_fixed_size: 0
    .sgpr_count:     11
    .sgpr_spill_count: 0
    .symbol:         _Z18vector_test_kernelI15HIP_vector_typeIhLj1EELj1ELj16EEvPT_S3_.kd
    .uniform_work_group_size: 1
    .uses_dynamic_stack: false
    .vgpr_count:     2
    .vgpr_spill_count: 0
    .wavefront_size: 64
  - .args:
      - .address_space:  global
        .offset:         0
        .size:           8
        .value_kind:     global_buffer
      - .address_space:  global
        .offset:         8
        .size:           8
        .value_kind:     global_buffer
    .group_segment_fixed_size: 0
    .kernarg_segment_align: 8
    .kernarg_segment_size: 16
    .language:       OpenCL C
    .language_version:
      - 2
      - 0
    .max_flat_workgroup_size: 1024
    .name:           _Z18vector_test_kernelI15HIP_vector_typeIdLj1EELj1ELj16EEvPT_S3_
    .private_segment_fixed_size: 0
    .sgpr_count:     11
    .sgpr_spill_count: 0
    .symbol:         _Z18vector_test_kernelI15HIP_vector_typeIdLj1EELj1ELj16EEvPT_S3_.kd
    .uniform_work_group_size: 1
    .uses_dynamic_stack: false
    .vgpr_count:     5
    .vgpr_spill_count: 0
    .wavefront_size: 64
  - .args:
      - .address_space:  global
        .offset:         0
        .size:           8
        .value_kind:     global_buffer
      - .address_space:  global
        .offset:         8
        .size:           8
        .value_kind:     global_buffer
    .group_segment_fixed_size: 0
    .kernarg_segment_align: 8
    .kernarg_segment_size: 16
    .language:       OpenCL C
    .language_version:
      - 2
      - 0
    .max_flat_workgroup_size: 1024
    .name:           _Z18vector_test_kernelI15HIP_vector_typeIfLj1EELj1ELj16EEvPT_S3_
    .private_segment_fixed_size: 0
    .sgpr_count:     11
    .sgpr_spill_count: 0
    .symbol:         _Z18vector_test_kernelI15HIP_vector_typeIfLj1EELj1ELj16EEvPT_S3_.kd
    .uniform_work_group_size: 1
    .uses_dynamic_stack: false
    .vgpr_count:     4
    .vgpr_spill_count: 0
    .wavefront_size: 64
  - .args:
      - .address_space:  global
        .offset:         0
        .size:           8
        .value_kind:     global_buffer
      - .address_space:  global
        .offset:         8
        .size:           8
        .value_kind:     global_buffer
    .group_segment_fixed_size: 0
    .kernarg_segment_align: 8
    .kernarg_segment_size: 16
    .language:       OpenCL C
    .language_version:
      - 2
      - 0
    .max_flat_workgroup_size: 1024
    .name:           _Z18vector_test_kernelI15HIP_vector_typeIyLj1EELj1ELj16EEvPT_S3_
    .private_segment_fixed_size: 0
    .sgpr_count:     11
    .sgpr_spill_count: 0
    .symbol:         _Z18vector_test_kernelI15HIP_vector_typeIyLj1EELj1ELj16EEvPT_S3_.kd
    .uniform_work_group_size: 1
    .uses_dynamic_stack: false
    .vgpr_count:     4
    .vgpr_spill_count: 0
    .wavefront_size: 64
  - .args:
      - .address_space:  global
        .offset:         0
        .size:           8
        .value_kind:     global_buffer
      - .address_space:  global
        .offset:         8
        .size:           8
        .value_kind:     global_buffer
    .group_segment_fixed_size: 0
    .kernarg_segment_align: 8
    .kernarg_segment_size: 16
    .language:       OpenCL C
    .language_version:
      - 2
      - 0
    .max_flat_workgroup_size: 1024
    .name:           _Z18vector_test_kernelI15HIP_vector_typeIxLj1EELj1ELj16EEvPT_S3_
    .private_segment_fixed_size: 0
    .sgpr_count:     11
    .sgpr_spill_count: 0
    .symbol:         _Z18vector_test_kernelI15HIP_vector_typeIxLj1EELj1ELj16EEvPT_S3_.kd
    .uniform_work_group_size: 1
    .uses_dynamic_stack: false
    .vgpr_count:     4
    .vgpr_spill_count: 0
    .wavefront_size: 64
  - .args:
      - .address_space:  global
        .offset:         0
        .size:           8
        .value_kind:     global_buffer
      - .address_space:  global
        .offset:         8
        .size:           8
        .value_kind:     global_buffer
    .group_segment_fixed_size: 0
    .kernarg_segment_align: 8
    .kernarg_segment_size: 16
    .language:       OpenCL C
    .language_version:
      - 2
      - 0
    .max_flat_workgroup_size: 1024
    .name:           _Z18vector_test_kernelI15HIP_vector_typeImLj1EELj1ELj16EEvPT_S3_
    .private_segment_fixed_size: 0
    .sgpr_count:     11
    .sgpr_spill_count: 0
    .symbol:         _Z18vector_test_kernelI15HIP_vector_typeImLj1EELj1ELj16EEvPT_S3_.kd
    .uniform_work_group_size: 1
    .uses_dynamic_stack: false
    .vgpr_count:     4
    .vgpr_spill_count: 0
    .wavefront_size: 64
  - .args:
      - .address_space:  global
        .offset:         0
        .size:           8
        .value_kind:     global_buffer
      - .address_space:  global
        .offset:         8
        .size:           8
        .value_kind:     global_buffer
    .group_segment_fixed_size: 0
    .kernarg_segment_align: 8
    .kernarg_segment_size: 16
    .language:       OpenCL C
    .language_version:
      - 2
      - 0
    .max_flat_workgroup_size: 1024
    .name:           _Z18vector_test_kernelI15HIP_vector_typeIlLj1EELj1ELj16EEvPT_S3_
    .private_segment_fixed_size: 0
    .sgpr_count:     11
    .sgpr_spill_count: 0
    .symbol:         _Z18vector_test_kernelI15HIP_vector_typeIlLj1EELj1ELj16EEvPT_S3_.kd
    .uniform_work_group_size: 1
    .uses_dynamic_stack: false
    .vgpr_count:     4
    .vgpr_spill_count: 0
    .wavefront_size: 64
  - .args:
      - .address_space:  global
        .offset:         0
        .size:           8
        .value_kind:     global_buffer
      - .address_space:  global
        .offset:         8
        .size:           8
        .value_kind:     global_buffer
    .group_segment_fixed_size: 0
    .kernarg_segment_align: 8
    .kernarg_segment_size: 16
    .language:       OpenCL C
    .language_version:
      - 2
      - 0
    .max_flat_workgroup_size: 1024
    .name:           _Z18vector_test_kernelI15HIP_vector_typeIjLj1EELj1ELj16EEvPT_S3_
    .private_segment_fixed_size: 0
    .sgpr_count:     11
    .sgpr_spill_count: 0
    .symbol:         _Z18vector_test_kernelI15HIP_vector_typeIjLj1EELj1ELj16EEvPT_S3_.kd
    .uniform_work_group_size: 1
    .uses_dynamic_stack: false
    .vgpr_count:     4
    .vgpr_spill_count: 0
    .wavefront_size: 64
  - .args:
      - .address_space:  global
        .offset:         0
        .size:           8
        .value_kind:     global_buffer
      - .address_space:  global
        .offset:         8
        .size:           8
        .value_kind:     global_buffer
    .group_segment_fixed_size: 0
    .kernarg_segment_align: 8
    .kernarg_segment_size: 16
    .language:       OpenCL C
    .language_version:
      - 2
      - 0
    .max_flat_workgroup_size: 1024
    .name:           _Z18vector_test_kernelI15HIP_vector_typeIiLj1EELj1ELj16EEvPT_S3_
    .private_segment_fixed_size: 0
    .sgpr_count:     11
    .sgpr_spill_count: 0
    .symbol:         _Z18vector_test_kernelI15HIP_vector_typeIiLj1EELj1ELj16EEvPT_S3_.kd
    .uniform_work_group_size: 1
    .uses_dynamic_stack: false
    .vgpr_count:     4
    .vgpr_spill_count: 0
    .wavefront_size: 64
  - .args:
      - .address_space:  global
        .offset:         0
        .size:           8
        .value_kind:     global_buffer
      - .address_space:  global
        .offset:         8
        .size:           8
        .value_kind:     global_buffer
    .group_segment_fixed_size: 0
    .kernarg_segment_align: 8
    .kernarg_segment_size: 16
    .language:       OpenCL C
    .language_version:
      - 2
      - 0
    .max_flat_workgroup_size: 1024
    .name:           _Z18vector_test_kernelI15HIP_vector_typeItLj1EELj1ELj16EEvPT_S3_
    .private_segment_fixed_size: 0
    .sgpr_count:     11
    .sgpr_spill_count: 0
    .symbol:         _Z18vector_test_kernelI15HIP_vector_typeItLj1EELj1ELj16EEvPT_S3_.kd
    .uniform_work_group_size: 1
    .uses_dynamic_stack: false
    .vgpr_count:     4
    .vgpr_spill_count: 0
    .wavefront_size: 64
  - .args:
      - .address_space:  global
        .offset:         0
        .size:           8
        .value_kind:     global_buffer
      - .address_space:  global
        .offset:         8
        .size:           8
        .value_kind:     global_buffer
    .group_segment_fixed_size: 0
    .kernarg_segment_align: 8
    .kernarg_segment_size: 16
    .language:       OpenCL C
    .language_version:
      - 2
      - 0
    .max_flat_workgroup_size: 1024
    .name:           _Z18vector_test_kernelI15HIP_vector_typeIsLj1EELj1ELj16EEvPT_S3_
    .private_segment_fixed_size: 0
    .sgpr_count:     11
    .sgpr_spill_count: 0
    .symbol:         _Z18vector_test_kernelI15HIP_vector_typeIsLj1EELj1ELj16EEvPT_S3_.kd
    .uniform_work_group_size: 1
    .uses_dynamic_stack: false
    .vgpr_count:     4
    .vgpr_spill_count: 0
    .wavefront_size: 64
  - .args:
      - .address_space:  global
        .offset:         0
        .size:           8
        .value_kind:     global_buffer
      - .address_space:  global
        .offset:         8
        .size:           8
        .value_kind:     global_buffer
    .group_segment_fixed_size: 0
    .kernarg_segment_align: 8
    .kernarg_segment_size: 16
    .language:       OpenCL C
    .language_version:
      - 2
      - 0
    .max_flat_workgroup_size: 1024
    .name:           _Z18vector_test_kernelI15HIP_vector_typeIcLj1EELj1ELj16EEvPT_S3_
    .private_segment_fixed_size: 0
    .sgpr_count:     11
    .sgpr_spill_count: 0
    .symbol:         _Z18vector_test_kernelI15HIP_vector_typeIcLj1EELj1ELj16EEvPT_S3_.kd
    .uniform_work_group_size: 1
    .uses_dynamic_stack: false
    .vgpr_count:     2
    .vgpr_spill_count: 0
    .wavefront_size: 64
  - .args:
      - .address_space:  global
        .offset:         0
        .size:           8
        .value_kind:     global_buffer
      - .address_space:  global
        .offset:         8
        .size:           8
        .value_kind:     global_buffer
    .group_segment_fixed_size: 0
    .kernarg_segment_align: 8
    .kernarg_segment_size: 16
    .language:       OpenCL C
    .language_version:
      - 2
      - 0
    .max_flat_workgroup_size: 1024
    .name:           _Z18vector_test_kernelI15HIP_vector_typeIhLj2EELj2ELj16EEvPT_S3_
    .private_segment_fixed_size: 0
    .sgpr_count:     11
    .sgpr_spill_count: 0
    .symbol:         _Z18vector_test_kernelI15HIP_vector_typeIhLj2EELj2ELj16EEvPT_S3_.kd
    .uniform_work_group_size: 1
    .uses_dynamic_stack: false
    .vgpr_count:     4
    .vgpr_spill_count: 0
    .wavefront_size: 64
  - .args:
      - .address_space:  global
        .offset:         0
        .size:           8
        .value_kind:     global_buffer
      - .address_space:  global
        .offset:         8
        .size:           8
        .value_kind:     global_buffer
    .group_segment_fixed_size: 0
    .kernarg_segment_align: 8
    .kernarg_segment_size: 16
    .language:       OpenCL C
    .language_version:
      - 2
      - 0
    .max_flat_workgroup_size: 1024
    .name:           _Z18vector_test_kernelI15HIP_vector_typeIdLj2EELj2ELj16EEvPT_S3_
    .private_segment_fixed_size: 0
    .sgpr_count:     11
    .sgpr_spill_count: 0
    .symbol:         _Z18vector_test_kernelI15HIP_vector_typeIdLj2EELj2ELj16EEvPT_S3_.kd
    .uniform_work_group_size: 1
    .uses_dynamic_stack: false
    .vgpr_count:     7
    .vgpr_spill_count: 0
    .wavefront_size: 64
  - .args:
      - .address_space:  global
        .offset:         0
        .size:           8
        .value_kind:     global_buffer
      - .address_space:  global
        .offset:         8
        .size:           8
        .value_kind:     global_buffer
    .group_segment_fixed_size: 0
    .kernarg_segment_align: 8
    .kernarg_segment_size: 16
    .language:       OpenCL C
    .language_version:
      - 2
      - 0
    .max_flat_workgroup_size: 1024
    .name:           _Z18vector_test_kernelI15HIP_vector_typeIfLj2EELj2ELj16EEvPT_S3_
    .private_segment_fixed_size: 0
    .sgpr_count:     11
    .sgpr_spill_count: 0
    .symbol:         _Z18vector_test_kernelI15HIP_vector_typeIfLj2EELj2ELj16EEvPT_S3_.kd
    .uniform_work_group_size: 1
    .uses_dynamic_stack: false
    .vgpr_count:     5
    .vgpr_spill_count: 0
    .wavefront_size: 64
  - .args:
      - .address_space:  global
        .offset:         0
        .size:           8
        .value_kind:     global_buffer
      - .address_space:  global
        .offset:         8
        .size:           8
        .value_kind:     global_buffer
    .group_segment_fixed_size: 0
    .kernarg_segment_align: 8
    .kernarg_segment_size: 16
    .language:       OpenCL C
    .language_version:
      - 2
      - 0
    .max_flat_workgroup_size: 1024
    .name:           _Z18vector_test_kernelI15HIP_vector_typeIyLj2EELj2ELj16EEvPT_S3_
    .private_segment_fixed_size: 0
    .sgpr_count:     11
    .sgpr_spill_count: 0
    .symbol:         _Z18vector_test_kernelI15HIP_vector_typeIyLj2EELj2ELj16EEvPT_S3_.kd
    .uniform_work_group_size: 1
    .uses_dynamic_stack: false
    .vgpr_count:     6
    .vgpr_spill_count: 0
    .wavefront_size: 64
  - .args:
      - .address_space:  global
        .offset:         0
        .size:           8
        .value_kind:     global_buffer
      - .address_space:  global
        .offset:         8
        .size:           8
        .value_kind:     global_buffer
    .group_segment_fixed_size: 0
    .kernarg_segment_align: 8
    .kernarg_segment_size: 16
    .language:       OpenCL C
    .language_version:
      - 2
      - 0
    .max_flat_workgroup_size: 1024
    .name:           _Z18vector_test_kernelI15HIP_vector_typeIxLj2EELj2ELj16EEvPT_S3_
    .private_segment_fixed_size: 0
    .sgpr_count:     11
    .sgpr_spill_count: 0
    .symbol:         _Z18vector_test_kernelI15HIP_vector_typeIxLj2EELj2ELj16EEvPT_S3_.kd
    .uniform_work_group_size: 1
    .uses_dynamic_stack: false
    .vgpr_count:     6
    .vgpr_spill_count: 0
    .wavefront_size: 64
  - .args:
      - .address_space:  global
        .offset:         0
        .size:           8
        .value_kind:     global_buffer
      - .address_space:  global
        .offset:         8
        .size:           8
        .value_kind:     global_buffer
    .group_segment_fixed_size: 0
    .kernarg_segment_align: 8
    .kernarg_segment_size: 16
    .language:       OpenCL C
    .language_version:
      - 2
      - 0
    .max_flat_workgroup_size: 1024
    .name:           _Z18vector_test_kernelI15HIP_vector_typeImLj2EELj2ELj16EEvPT_S3_
    .private_segment_fixed_size: 0
    .sgpr_count:     11
    .sgpr_spill_count: 0
    .symbol:         _Z18vector_test_kernelI15HIP_vector_typeImLj2EELj2ELj16EEvPT_S3_.kd
    .uniform_work_group_size: 1
    .uses_dynamic_stack: false
    .vgpr_count:     6
    .vgpr_spill_count: 0
    .wavefront_size: 64
  - .args:
      - .address_space:  global
        .offset:         0
        .size:           8
        .value_kind:     global_buffer
      - .address_space:  global
        .offset:         8
        .size:           8
        .value_kind:     global_buffer
    .group_segment_fixed_size: 0
    .kernarg_segment_align: 8
    .kernarg_segment_size: 16
    .language:       OpenCL C
    .language_version:
      - 2
      - 0
    .max_flat_workgroup_size: 1024
    .name:           _Z18vector_test_kernelI15HIP_vector_typeIlLj2EELj2ELj16EEvPT_S3_
    .private_segment_fixed_size: 0
    .sgpr_count:     11
    .sgpr_spill_count: 0
    .symbol:         _Z18vector_test_kernelI15HIP_vector_typeIlLj2EELj2ELj16EEvPT_S3_.kd
    .uniform_work_group_size: 1
    .uses_dynamic_stack: false
    .vgpr_count:     6
    .vgpr_spill_count: 0
    .wavefront_size: 64
  - .args:
      - .address_space:  global
        .offset:         0
        .size:           8
        .value_kind:     global_buffer
      - .address_space:  global
        .offset:         8
        .size:           8
        .value_kind:     global_buffer
    .group_segment_fixed_size: 0
    .kernarg_segment_align: 8
    .kernarg_segment_size: 16
    .language:       OpenCL C
    .language_version:
      - 2
      - 0
    .max_flat_workgroup_size: 1024
    .name:           _Z18vector_test_kernelI15HIP_vector_typeIjLj2EELj2ELj16EEvPT_S3_
    .private_segment_fixed_size: 0
    .sgpr_count:     11
    .sgpr_spill_count: 0
    .symbol:         _Z18vector_test_kernelI15HIP_vector_typeIjLj2EELj2ELj16EEvPT_S3_.kd
    .uniform_work_group_size: 1
    .uses_dynamic_stack: false
    .vgpr_count:     4
    .vgpr_spill_count: 0
    .wavefront_size: 64
  - .args:
      - .address_space:  global
        .offset:         0
        .size:           8
        .value_kind:     global_buffer
      - .address_space:  global
        .offset:         8
        .size:           8
        .value_kind:     global_buffer
    .group_segment_fixed_size: 0
    .kernarg_segment_align: 8
    .kernarg_segment_size: 16
    .language:       OpenCL C
    .language_version:
      - 2
      - 0
    .max_flat_workgroup_size: 1024
    .name:           _Z18vector_test_kernelI15HIP_vector_typeIiLj2EELj2ELj16EEvPT_S3_
    .private_segment_fixed_size: 0
    .sgpr_count:     11
    .sgpr_spill_count: 0
    .symbol:         _Z18vector_test_kernelI15HIP_vector_typeIiLj2EELj2ELj16EEvPT_S3_.kd
    .uniform_work_group_size: 1
    .uses_dynamic_stack: false
    .vgpr_count:     4
    .vgpr_spill_count: 0
    .wavefront_size: 64
  - .args:
      - .address_space:  global
        .offset:         0
        .size:           8
        .value_kind:     global_buffer
      - .address_space:  global
        .offset:         8
        .size:           8
        .value_kind:     global_buffer
    .group_segment_fixed_size: 0
    .kernarg_segment_align: 8
    .kernarg_segment_size: 16
    .language:       OpenCL C
    .language_version:
      - 2
      - 0
    .max_flat_workgroup_size: 1024
    .name:           _Z18vector_test_kernelI15HIP_vector_typeItLj2EELj2ELj16EEvPT_S3_
    .private_segment_fixed_size: 0
    .sgpr_count:     11
    .sgpr_spill_count: 0
    .symbol:         _Z18vector_test_kernelI15HIP_vector_typeItLj2EELj2ELj16EEvPT_S3_.kd
    .uniform_work_group_size: 1
    .uses_dynamic_stack: false
    .vgpr_count:     4
    .vgpr_spill_count: 0
    .wavefront_size: 64
  - .args:
      - .address_space:  global
        .offset:         0
        .size:           8
        .value_kind:     global_buffer
      - .address_space:  global
        .offset:         8
        .size:           8
        .value_kind:     global_buffer
    .group_segment_fixed_size: 0
    .kernarg_segment_align: 8
    .kernarg_segment_size: 16
    .language:       OpenCL C
    .language_version:
      - 2
      - 0
    .max_flat_workgroup_size: 1024
    .name:           _Z18vector_test_kernelI15HIP_vector_typeIsLj2EELj2ELj16EEvPT_S3_
    .private_segment_fixed_size: 0
    .sgpr_count:     11
    .sgpr_spill_count: 0
    .symbol:         _Z18vector_test_kernelI15HIP_vector_typeIsLj2EELj2ELj16EEvPT_S3_.kd
    .uniform_work_group_size: 1
    .uses_dynamic_stack: false
    .vgpr_count:     4
    .vgpr_spill_count: 0
    .wavefront_size: 64
  - .args:
      - .address_space:  global
        .offset:         0
        .size:           8
        .value_kind:     global_buffer
      - .address_space:  global
        .offset:         8
        .size:           8
        .value_kind:     global_buffer
    .group_segment_fixed_size: 0
    .kernarg_segment_align: 8
    .kernarg_segment_size: 16
    .language:       OpenCL C
    .language_version:
      - 2
      - 0
    .max_flat_workgroup_size: 1024
    .name:           _Z18vector_test_kernelI15HIP_vector_typeIcLj2EELj2ELj16EEvPT_S3_
    .private_segment_fixed_size: 0
    .sgpr_count:     11
    .sgpr_spill_count: 0
    .symbol:         _Z18vector_test_kernelI15HIP_vector_typeIcLj2EELj2ELj16EEvPT_S3_.kd
    .uniform_work_group_size: 1
    .uses_dynamic_stack: false
    .vgpr_count:     4
    .vgpr_spill_count: 0
    .wavefront_size: 64
  - .args:
      - .address_space:  global
        .offset:         0
        .size:           8
        .value_kind:     global_buffer
      - .address_space:  global
        .offset:         8
        .size:           8
        .value_kind:     global_buffer
    .group_segment_fixed_size: 0
    .kernarg_segment_align: 8
    .kernarg_segment_size: 16
    .language:       OpenCL C
    .language_version:
      - 2
      - 0
    .max_flat_workgroup_size: 1024
    .name:           _Z18vector_test_kernelI15HIP_vector_typeIhLj3EELj3ELj16EEvPT_S3_
    .private_segment_fixed_size: 0
    .sgpr_count:     11
    .sgpr_spill_count: 0
    .symbol:         _Z18vector_test_kernelI15HIP_vector_typeIhLj3EELj3ELj16EEvPT_S3_.kd
    .uniform_work_group_size: 1
    .uses_dynamic_stack: false
    .vgpr_count:     3
    .vgpr_spill_count: 0
    .wavefront_size: 64
  - .args:
      - .address_space:  global
        .offset:         0
        .size:           8
        .value_kind:     global_buffer
      - .address_space:  global
        .offset:         8
        .size:           8
        .value_kind:     global_buffer
    .group_segment_fixed_size: 0
    .kernarg_segment_align: 8
    .kernarg_segment_size: 16
    .language:       OpenCL C
    .language_version:
      - 2
      - 0
    .max_flat_workgroup_size: 1024
    .name:           _Z18vector_test_kernelI15HIP_vector_typeIdLj3EELj3ELj16EEvPT_S3_
    .private_segment_fixed_size: 0
    .sgpr_count:     11
    .sgpr_spill_count: 0
    .symbol:         _Z18vector_test_kernelI15HIP_vector_typeIdLj3EELj3ELj16EEvPT_S3_.kd
    .uniform_work_group_size: 1
    .uses_dynamic_stack: false
    .vgpr_count:     9
    .vgpr_spill_count: 0
    .wavefront_size: 64
  - .args:
      - .address_space:  global
        .offset:         0
        .size:           8
        .value_kind:     global_buffer
      - .address_space:  global
        .offset:         8
        .size:           8
        .value_kind:     global_buffer
    .group_segment_fixed_size: 0
    .kernarg_segment_align: 8
    .kernarg_segment_size: 16
    .language:       OpenCL C
    .language_version:
      - 2
      - 0
    .max_flat_workgroup_size: 1024
    .name:           _Z18vector_test_kernelI15HIP_vector_typeIfLj3EELj3ELj16EEvPT_S3_
    .private_segment_fixed_size: 0
    .sgpr_count:     11
    .sgpr_spill_count: 0
    .symbol:         _Z18vector_test_kernelI15HIP_vector_typeIfLj3EELj3ELj16EEvPT_S3_.kd
    .uniform_work_group_size: 1
    .uses_dynamic_stack: false
    .vgpr_count:     6
    .vgpr_spill_count: 0
    .wavefront_size: 64
  - .args:
      - .address_space:  global
        .offset:         0
        .size:           8
        .value_kind:     global_buffer
      - .address_space:  global
        .offset:         8
        .size:           8
        .value_kind:     global_buffer
    .group_segment_fixed_size: 0
    .kernarg_segment_align: 8
    .kernarg_segment_size: 16
    .language:       OpenCL C
    .language_version:
      - 2
      - 0
    .max_flat_workgroup_size: 1024
    .name:           _Z18vector_test_kernelI15HIP_vector_typeIyLj3EELj3ELj16EEvPT_S3_
    .private_segment_fixed_size: 0
    .sgpr_count:     11
    .sgpr_spill_count: 0
    .symbol:         _Z18vector_test_kernelI15HIP_vector_typeIyLj3EELj3ELj16EEvPT_S3_.kd
    .uniform_work_group_size: 1
    .uses_dynamic_stack: false
    .vgpr_count:     6
    .vgpr_spill_count: 0
    .wavefront_size: 64
  - .args:
      - .address_space:  global
        .offset:         0
        .size:           8
        .value_kind:     global_buffer
      - .address_space:  global
        .offset:         8
        .size:           8
        .value_kind:     global_buffer
    .group_segment_fixed_size: 0
    .kernarg_segment_align: 8
    .kernarg_segment_size: 16
    .language:       OpenCL C
    .language_version:
      - 2
      - 0
    .max_flat_workgroup_size: 1024
    .name:           _Z18vector_test_kernelI15HIP_vector_typeIxLj3EELj3ELj16EEvPT_S3_
    .private_segment_fixed_size: 0
    .sgpr_count:     11
    .sgpr_spill_count: 0
    .symbol:         _Z18vector_test_kernelI15HIP_vector_typeIxLj3EELj3ELj16EEvPT_S3_.kd
    .uniform_work_group_size: 1
    .uses_dynamic_stack: false
    .vgpr_count:     6
    .vgpr_spill_count: 0
    .wavefront_size: 64
  - .args:
      - .address_space:  global
        .offset:         0
        .size:           8
        .value_kind:     global_buffer
      - .address_space:  global
        .offset:         8
        .size:           8
        .value_kind:     global_buffer
    .group_segment_fixed_size: 0
    .kernarg_segment_align: 8
    .kernarg_segment_size: 16
    .language:       OpenCL C
    .language_version:
      - 2
      - 0
    .max_flat_workgroup_size: 1024
    .name:           _Z18vector_test_kernelI15HIP_vector_typeImLj3EELj3ELj16EEvPT_S3_
    .private_segment_fixed_size: 0
    .sgpr_count:     11
    .sgpr_spill_count: 0
    .symbol:         _Z18vector_test_kernelI15HIP_vector_typeImLj3EELj3ELj16EEvPT_S3_.kd
    .uniform_work_group_size: 1
    .uses_dynamic_stack: false
    .vgpr_count:     6
    .vgpr_spill_count: 0
    .wavefront_size: 64
  - .args:
      - .address_space:  global
        .offset:         0
        .size:           8
        .value_kind:     global_buffer
      - .address_space:  global
        .offset:         8
        .size:           8
        .value_kind:     global_buffer
    .group_segment_fixed_size: 0
    .kernarg_segment_align: 8
    .kernarg_segment_size: 16
    .language:       OpenCL C
    .language_version:
      - 2
      - 0
    .max_flat_workgroup_size: 1024
    .name:           _Z18vector_test_kernelI15HIP_vector_typeIlLj3EELj3ELj16EEvPT_S3_
    .private_segment_fixed_size: 0
    .sgpr_count:     11
    .sgpr_spill_count: 0
    .symbol:         _Z18vector_test_kernelI15HIP_vector_typeIlLj3EELj3ELj16EEvPT_S3_.kd
    .uniform_work_group_size: 1
    .uses_dynamic_stack: false
    .vgpr_count:     6
    .vgpr_spill_count: 0
    .wavefront_size: 64
  - .args:
      - .address_space:  global
        .offset:         0
        .size:           8
        .value_kind:     global_buffer
      - .address_space:  global
        .offset:         8
        .size:           8
        .value_kind:     global_buffer
    .group_segment_fixed_size: 0
    .kernarg_segment_align: 8
    .kernarg_segment_size: 16
    .language:       OpenCL C
    .language_version:
      - 2
      - 0
    .max_flat_workgroup_size: 1024
    .name:           _Z18vector_test_kernelI15HIP_vector_typeIjLj3EELj3ELj16EEvPT_S3_
    .private_segment_fixed_size: 0
    .sgpr_count:     11
    .sgpr_spill_count: 0
    .symbol:         _Z18vector_test_kernelI15HIP_vector_typeIjLj3EELj3ELj16EEvPT_S3_.kd
    .uniform_work_group_size: 1
    .uses_dynamic_stack: false
    .vgpr_count:     5
    .vgpr_spill_count: 0
    .wavefront_size: 64
  - .args:
      - .address_space:  global
        .offset:         0
        .size:           8
        .value_kind:     global_buffer
      - .address_space:  global
        .offset:         8
        .size:           8
        .value_kind:     global_buffer
    .group_segment_fixed_size: 0
    .kernarg_segment_align: 8
    .kernarg_segment_size: 16
    .language:       OpenCL C
    .language_version:
      - 2
      - 0
    .max_flat_workgroup_size: 1024
    .name:           _Z18vector_test_kernelI15HIP_vector_typeIiLj3EELj3ELj16EEvPT_S3_
    .private_segment_fixed_size: 0
    .sgpr_count:     11
    .sgpr_spill_count: 0
    .symbol:         _Z18vector_test_kernelI15HIP_vector_typeIiLj3EELj3ELj16EEvPT_S3_.kd
    .uniform_work_group_size: 1
    .uses_dynamic_stack: false
    .vgpr_count:     5
    .vgpr_spill_count: 0
    .wavefront_size: 64
  - .args:
      - .address_space:  global
        .offset:         0
        .size:           8
        .value_kind:     global_buffer
      - .address_space:  global
        .offset:         8
        .size:           8
        .value_kind:     global_buffer
    .group_segment_fixed_size: 0
    .kernarg_segment_align: 8
    .kernarg_segment_size: 16
    .language:       OpenCL C
    .language_version:
      - 2
      - 0
    .max_flat_workgroup_size: 1024
    .name:           _Z18vector_test_kernelI15HIP_vector_typeItLj3EELj3ELj16EEvPT_S3_
    .private_segment_fixed_size: 0
    .sgpr_count:     11
    .sgpr_spill_count: 0
    .symbol:         _Z18vector_test_kernelI15HIP_vector_typeItLj3EELj3ELj16EEvPT_S3_.kd
    .uniform_work_group_size: 1
    .uses_dynamic_stack: false
    .vgpr_count:     3
    .vgpr_spill_count: 0
    .wavefront_size: 64
  - .args:
      - .address_space:  global
        .offset:         0
        .size:           8
        .value_kind:     global_buffer
      - .address_space:  global
        .offset:         8
        .size:           8
        .value_kind:     global_buffer
    .group_segment_fixed_size: 0
    .kernarg_segment_align: 8
    .kernarg_segment_size: 16
    .language:       OpenCL C
    .language_version:
      - 2
      - 0
    .max_flat_workgroup_size: 1024
    .name:           _Z18vector_test_kernelI15HIP_vector_typeIsLj3EELj3ELj16EEvPT_S3_
    .private_segment_fixed_size: 0
    .sgpr_count:     11
    .sgpr_spill_count: 0
    .symbol:         _Z18vector_test_kernelI15HIP_vector_typeIsLj3EELj3ELj16EEvPT_S3_.kd
    .uniform_work_group_size: 1
    .uses_dynamic_stack: false
    .vgpr_count:     3
    .vgpr_spill_count: 0
    .wavefront_size: 64
  - .args:
      - .address_space:  global
        .offset:         0
        .size:           8
        .value_kind:     global_buffer
      - .address_space:  global
        .offset:         8
        .size:           8
        .value_kind:     global_buffer
    .group_segment_fixed_size: 0
    .kernarg_segment_align: 8
    .kernarg_segment_size: 16
    .language:       OpenCL C
    .language_version:
      - 2
      - 0
    .max_flat_workgroup_size: 1024
    .name:           _Z18vector_test_kernelI15HIP_vector_typeIcLj3EELj3ELj16EEvPT_S3_
    .private_segment_fixed_size: 0
    .sgpr_count:     11
    .sgpr_spill_count: 0
    .symbol:         _Z18vector_test_kernelI15HIP_vector_typeIcLj3EELj3ELj16EEvPT_S3_.kd
    .uniform_work_group_size: 1
    .uses_dynamic_stack: false
    .vgpr_count:     3
    .vgpr_spill_count: 0
    .wavefront_size: 64
  - .args:
      - .address_space:  global
        .offset:         0
        .size:           8
        .value_kind:     global_buffer
      - .address_space:  global
        .offset:         8
        .size:           8
        .value_kind:     global_buffer
    .group_segment_fixed_size: 0
    .kernarg_segment_align: 8
    .kernarg_segment_size: 16
    .language:       OpenCL C
    .language_version:
      - 2
      - 0
    .max_flat_workgroup_size: 1024
    .name:           _Z18vector_test_kernelI15HIP_vector_typeIhLj4EELj4ELj16EEvPT_S3_
    .private_segment_fixed_size: 0
    .sgpr_count:     11
    .sgpr_spill_count: 0
    .symbol:         _Z18vector_test_kernelI15HIP_vector_typeIhLj4EELj4ELj16EEvPT_S3_.kd
    .uniform_work_group_size: 1
    .uses_dynamic_stack: false
    .vgpr_count:     4
    .vgpr_spill_count: 0
    .wavefront_size: 64
  - .args:
      - .address_space:  global
        .offset:         0
        .size:           8
        .value_kind:     global_buffer
      - .address_space:  global
        .offset:         8
        .size:           8
        .value_kind:     global_buffer
    .group_segment_fixed_size: 0
    .kernarg_segment_align: 8
    .kernarg_segment_size: 16
    .language:       OpenCL C
    .language_version:
      - 2
      - 0
    .max_flat_workgroup_size: 1024
    .name:           _Z18vector_test_kernelI15HIP_vector_typeIdLj4EELj4ELj16EEvPT_S3_
    .private_segment_fixed_size: 0
    .sgpr_count:     11
    .sgpr_spill_count: 0
    .symbol:         _Z18vector_test_kernelI15HIP_vector_typeIdLj4EELj4ELj16EEvPT_S3_.kd
    .uniform_work_group_size: 1
    .uses_dynamic_stack: false
    .vgpr_count:     12
    .vgpr_spill_count: 0
    .wavefront_size: 64
  - .args:
      - .address_space:  global
        .offset:         0
        .size:           8
        .value_kind:     global_buffer
      - .address_space:  global
        .offset:         8
        .size:           8
        .value_kind:     global_buffer
    .group_segment_fixed_size: 0
    .kernarg_segment_align: 8
    .kernarg_segment_size: 16
    .language:       OpenCL C
    .language_version:
      - 2
      - 0
    .max_flat_workgroup_size: 1024
    .name:           _Z18vector_test_kernelI15HIP_vector_typeIfLj4EELj4ELj16EEvPT_S3_
    .private_segment_fixed_size: 0
    .sgpr_count:     11
    .sgpr_spill_count: 0
    .symbol:         _Z18vector_test_kernelI15HIP_vector_typeIfLj4EELj4ELj16EEvPT_S3_.kd
    .uniform_work_group_size: 1
    .uses_dynamic_stack: false
    .vgpr_count:     7
    .vgpr_spill_count: 0
    .wavefront_size: 64
  - .args:
      - .address_space:  global
        .offset:         0
        .size:           8
        .value_kind:     global_buffer
      - .address_space:  global
        .offset:         8
        .size:           8
        .value_kind:     global_buffer
    .group_segment_fixed_size: 0
    .kernarg_segment_align: 8
    .kernarg_segment_size: 16
    .language:       OpenCL C
    .language_version:
      - 2
      - 0
    .max_flat_workgroup_size: 1024
    .name:           _Z18vector_test_kernelI15HIP_vector_typeIyLj4EELj4ELj16EEvPT_S3_
    .private_segment_fixed_size: 0
    .sgpr_count:     11
    .sgpr_spill_count: 0
    .symbol:         _Z18vector_test_kernelI15HIP_vector_typeIyLj4EELj4ELj16EEvPT_S3_.kd
    .uniform_work_group_size: 1
    .uses_dynamic_stack: false
    .vgpr_count:     6
    .vgpr_spill_count: 0
    .wavefront_size: 64
  - .args:
      - .address_space:  global
        .offset:         0
        .size:           8
        .value_kind:     global_buffer
      - .address_space:  global
        .offset:         8
        .size:           8
        .value_kind:     global_buffer
    .group_segment_fixed_size: 0
    .kernarg_segment_align: 8
    .kernarg_segment_size: 16
    .language:       OpenCL C
    .language_version:
      - 2
      - 0
    .max_flat_workgroup_size: 1024
    .name:           _Z18vector_test_kernelI15HIP_vector_typeIxLj4EELj4ELj16EEvPT_S3_
    .private_segment_fixed_size: 0
    .sgpr_count:     11
    .sgpr_spill_count: 0
    .symbol:         _Z18vector_test_kernelI15HIP_vector_typeIxLj4EELj4ELj16EEvPT_S3_.kd
    .uniform_work_group_size: 1
    .uses_dynamic_stack: false
    .vgpr_count:     6
    .vgpr_spill_count: 0
    .wavefront_size: 64
  - .args:
      - .address_space:  global
        .offset:         0
        .size:           8
        .value_kind:     global_buffer
      - .address_space:  global
        .offset:         8
        .size:           8
        .value_kind:     global_buffer
    .group_segment_fixed_size: 0
    .kernarg_segment_align: 8
    .kernarg_segment_size: 16
    .language:       OpenCL C
    .language_version:
      - 2
      - 0
    .max_flat_workgroup_size: 1024
    .name:           _Z18vector_test_kernelI15HIP_vector_typeImLj4EELj4ELj16EEvPT_S3_
    .private_segment_fixed_size: 0
    .sgpr_count:     11
    .sgpr_spill_count: 0
    .symbol:         _Z18vector_test_kernelI15HIP_vector_typeImLj4EELj4ELj16EEvPT_S3_.kd
    .uniform_work_group_size: 1
    .uses_dynamic_stack: false
    .vgpr_count:     6
    .vgpr_spill_count: 0
    .wavefront_size: 64
  - .args:
      - .address_space:  global
        .offset:         0
        .size:           8
        .value_kind:     global_buffer
      - .address_space:  global
        .offset:         8
        .size:           8
        .value_kind:     global_buffer
    .group_segment_fixed_size: 0
    .kernarg_segment_align: 8
    .kernarg_segment_size: 16
    .language:       OpenCL C
    .language_version:
      - 2
      - 0
    .max_flat_workgroup_size: 1024
    .name:           _Z18vector_test_kernelI15HIP_vector_typeIlLj4EELj4ELj16EEvPT_S3_
    .private_segment_fixed_size: 0
    .sgpr_count:     11
    .sgpr_spill_count: 0
    .symbol:         _Z18vector_test_kernelI15HIP_vector_typeIlLj4EELj4ELj16EEvPT_S3_.kd
    .uniform_work_group_size: 1
    .uses_dynamic_stack: false
    .vgpr_count:     6
    .vgpr_spill_count: 0
    .wavefront_size: 64
  - .args:
      - .address_space:  global
        .offset:         0
        .size:           8
        .value_kind:     global_buffer
      - .address_space:  global
        .offset:         8
        .size:           8
        .value_kind:     global_buffer
    .group_segment_fixed_size: 0
    .kernarg_segment_align: 8
    .kernarg_segment_size: 16
    .language:       OpenCL C
    .language_version:
      - 2
      - 0
    .max_flat_workgroup_size: 1024
    .name:           _Z18vector_test_kernelI15HIP_vector_typeIjLj4EELj4ELj16EEvPT_S3_
    .private_segment_fixed_size: 0
    .sgpr_count:     11
    .sgpr_spill_count: 0
    .symbol:         _Z18vector_test_kernelI15HIP_vector_typeIjLj4EELj4ELj16EEvPT_S3_.kd
    .uniform_work_group_size: 1
    .uses_dynamic_stack: false
    .vgpr_count:     6
    .vgpr_spill_count: 0
    .wavefront_size: 64
  - .args:
      - .address_space:  global
        .offset:         0
        .size:           8
        .value_kind:     global_buffer
      - .address_space:  global
        .offset:         8
        .size:           8
        .value_kind:     global_buffer
    .group_segment_fixed_size: 0
    .kernarg_segment_align: 8
    .kernarg_segment_size: 16
    .language:       OpenCL C
    .language_version:
      - 2
      - 0
    .max_flat_workgroup_size: 1024
    .name:           _Z18vector_test_kernelI15HIP_vector_typeIiLj4EELj4ELj16EEvPT_S3_
    .private_segment_fixed_size: 0
    .sgpr_count:     11
    .sgpr_spill_count: 0
    .symbol:         _Z18vector_test_kernelI15HIP_vector_typeIiLj4EELj4ELj16EEvPT_S3_.kd
    .uniform_work_group_size: 1
    .uses_dynamic_stack: false
    .vgpr_count:     6
    .vgpr_spill_count: 0
    .wavefront_size: 64
  - .args:
      - .address_space:  global
        .offset:         0
        .size:           8
        .value_kind:     global_buffer
      - .address_space:  global
        .offset:         8
        .size:           8
        .value_kind:     global_buffer
    .group_segment_fixed_size: 0
    .kernarg_segment_align: 8
    .kernarg_segment_size: 16
    .language:       OpenCL C
    .language_version:
      - 2
      - 0
    .max_flat_workgroup_size: 1024
    .name:           _Z18vector_test_kernelI15HIP_vector_typeItLj4EELj4ELj16EEvPT_S3_
    .private_segment_fixed_size: 0
    .sgpr_count:     11
    .sgpr_spill_count: 0
    .symbol:         _Z18vector_test_kernelI15HIP_vector_typeItLj4EELj4ELj16EEvPT_S3_.kd
    .uniform_work_group_size: 1
    .uses_dynamic_stack: false
    .vgpr_count:     4
    .vgpr_spill_count: 0
    .wavefront_size: 64
  - .args:
      - .address_space:  global
        .offset:         0
        .size:           8
        .value_kind:     global_buffer
      - .address_space:  global
        .offset:         8
        .size:           8
        .value_kind:     global_buffer
    .group_segment_fixed_size: 0
    .kernarg_segment_align: 8
    .kernarg_segment_size: 16
    .language:       OpenCL C
    .language_version:
      - 2
      - 0
    .max_flat_workgroup_size: 1024
    .name:           _Z18vector_test_kernelI15HIP_vector_typeIsLj4EELj4ELj16EEvPT_S3_
    .private_segment_fixed_size: 0
    .sgpr_count:     11
    .sgpr_spill_count: 0
    .symbol:         _Z18vector_test_kernelI15HIP_vector_typeIsLj4EELj4ELj16EEvPT_S3_.kd
    .uniform_work_group_size: 1
    .uses_dynamic_stack: false
    .vgpr_count:     4
    .vgpr_spill_count: 0
    .wavefront_size: 64
  - .args:
      - .address_space:  global
        .offset:         0
        .size:           8
        .value_kind:     global_buffer
      - .address_space:  global
        .offset:         8
        .size:           8
        .value_kind:     global_buffer
    .group_segment_fixed_size: 0
    .kernarg_segment_align: 8
    .kernarg_segment_size: 16
    .language:       OpenCL C
    .language_version:
      - 2
      - 0
    .max_flat_workgroup_size: 1024
    .name:           _Z18vector_test_kernelI15HIP_vector_typeIcLj4EELj4ELj16EEvPT_S3_
    .private_segment_fixed_size: 0
    .sgpr_count:     11
    .sgpr_spill_count: 0
    .symbol:         _Z18vector_test_kernelI15HIP_vector_typeIcLj4EELj4ELj16EEvPT_S3_.kd
    .uniform_work_group_size: 1
    .uses_dynamic_stack: false
    .vgpr_count:     4
    .vgpr_spill_count: 0
    .wavefront_size: 64
amdhsa.target:   amdgcn-amd-amdhsa--gfx906
amdhsa.version:
  - 1
  - 2
...

	.end_amdgpu_metadata
